;; amdgpu-corpus repo=ROCm/rocFFT kind=compiled arch=gfx1030 opt=O3
	.text
	.amdgcn_target "amdgcn-amd-amdhsa--gfx1030"
	.amdhsa_code_object_version 6
	.protected	bluestein_single_fwd_len1452_dim1_sp_op_CI_CI ; -- Begin function bluestein_single_fwd_len1452_dim1_sp_op_CI_CI
	.globl	bluestein_single_fwd_len1452_dim1_sp_op_CI_CI
	.p2align	8
	.type	bluestein_single_fwd_len1452_dim1_sp_op_CI_CI,@function
bluestein_single_fwd_len1452_dim1_sp_op_CI_CI: ; @bluestein_single_fwd_len1452_dim1_sp_op_CI_CI
; %bb.0:
	s_load_dwordx4 s[12:15], s[4:5], 0x28
	v_mul_u32_u24_e32 v1, 0x1f1, v0
	v_mov_b32_e32 v65, 0
	s_mov_b32 s0, exec_lo
	v_lshrrev_b32_e32 v1, 16, v1
	v_add_nc_u32_e32 v64, s6, v1
	s_waitcnt lgkmcnt(0)
	v_cmpx_gt_u64_e64 s[12:13], v[64:65]
	s_cbranch_execz .LBB0_18
; %bb.1:
	s_clause 0x1
	s_load_dwordx4 s[8:11], s[4:5], 0x18
	s_load_dwordx4 s[0:3], s[4:5], 0x0
	v_mul_lo_u16 v1, 0x84, v1
	v_mov_b32_e32 v40, 3
	s_load_dwordx2 s[4:5], s[4:5], 0x38
	v_sub_nc_u16 v16, v0, v1
	v_and_b32_e32 v104, 0xffff, v16
	v_lshlrev_b32_e32 v103, 3, v104
	s_waitcnt lgkmcnt(0)
	s_load_dwordx4 s[16:19], s[8:9], 0x0
	s_clause 0x1
	global_load_dwordx2 v[65:66], v103, s[0:1]
	global_load_dwordx2 v[67:68], v103, s[0:1] offset:1056
	v_add_co_u32 v105, s6, s0, v103
	v_add_co_ci_u32_e64 v106, null, s1, 0, s6
	v_add_nc_u32_e32 v31, 0x1800, v103
	v_add_co_u32 v2, vcc_lo, 0x800, v105
	v_add_co_ci_u32_e32 v3, vcc_lo, 0, v106, vcc_lo
	v_add_co_u32 v4, vcc_lo, 0x1000, v105
	v_add_co_ci_u32_e32 v5, vcc_lo, 0, v106, vcc_lo
	v_add_co_u32 v8, vcc_lo, 0x1800, v105
	v_add_co_ci_u32_e32 v9, vcc_lo, 0, v106, vcc_lo
	s_waitcnt lgkmcnt(0)
	v_mad_u64_u32 v[0:1], null, s18, v64, 0
	v_mad_u64_u32 v[6:7], null, s16, v104, 0
	s_clause 0x1
	global_load_dwordx2 v[85:86], v[2:3], off offset:64
	global_load_dwordx2 v[81:82], v[2:3], off offset:1120
	s_mul_i32 s0, s17, 0x420
	s_mul_hi_u32 s1, s16, 0x420
	s_mul_i32 s6, s16, 0x420
	v_mad_u64_u32 v[10:11], null, s19, v64, v[1:2]
	v_mov_b32_e32 v1, v7
	v_add_co_u32 v11, vcc_lo, 0x2000, v105
	v_add_co_ci_u32_e32 v12, vcc_lo, 0, v106, vcc_lo
	v_mad_u64_u32 v[13:14], null, s17, v104, v[1:2]
	v_mov_b32_e32 v1, v10
	v_add_co_u32 v87, vcc_lo, 0x2800, v105
	v_add_co_ci_u32_e32 v88, vcc_lo, 0, v106, vcc_lo
	v_lshlrev_b64 v[0:1], 3, v[0:1]
	v_mov_b32_e32 v7, v13
	s_add_i32 s1, s1, s0
	s_clause 0x4
	global_load_dwordx2 v[83:84], v[4:5], off offset:128
	global_load_dwordx2 v[79:80], v[4:5], off offset:1184
	;; [unrolled: 1-line block ×5, first 2 shown]
	v_lshlrev_b64 v[2:3], 3, v[6:7]
	v_add_co_u32 v0, vcc_lo, s14, v0
	v_add_co_ci_u32_e32 v1, vcc_lo, s15, v1, vcc_lo
	v_add_co_u32 v0, vcc_lo, v0, v2
	v_add_co_ci_u32_e32 v1, vcc_lo, v1, v3, vcc_lo
	;; [unrolled: 2-line block ×4, first 2 shown]
	s_clause 0x1
	global_load_dwordx2 v[0:1], v[0:1], off
	global_load_dwordx2 v[2:3], v[2:3], off
	v_add_co_u32 v6, vcc_lo, v4, s6
	v_add_co_ci_u32_e32 v7, vcc_lo, s1, v5, vcc_lo
	global_load_dwordx2 v[4:5], v[4:5], off
	v_add_co_u32 v8, vcc_lo, v6, s6
	v_add_co_ci_u32_e32 v9, vcc_lo, s1, v7, vcc_lo
	v_add_co_u32 v13, vcc_lo, v8, s6
	v_add_co_ci_u32_e32 v14, vcc_lo, s1, v9, vcc_lo
	s_clause 0x1
	global_load_dwordx2 v[6:7], v[6:7], off
	global_load_dwordx2 v[8:9], v[8:9], off
	v_add_co_u32 v17, vcc_lo, v13, s6
	v_add_co_ci_u32_e32 v18, vcc_lo, s1, v14, vcc_lo
	global_load_dwordx2 v[19:20], v[13:14], off
	v_add_co_u32 v13, vcc_lo, v17, s6
	v_add_co_ci_u32_e32 v14, vcc_lo, s1, v18, vcc_lo
	;; [unrolled: 3-line block ×5, first 2 shown]
	global_load_dwordx2 v[75:76], v[11:12], off offset:1312
	global_load_dwordx2 v[10:11], v[13:14], off
	global_load_dwordx2 v[77:78], v[87:88], off offset:320
	global_load_dwordx2 v[12:13], v[17:18], off
	v_add_nc_u32_e32 v18, 0x800, v103
	v_add_nc_u32_e32 v17, 0x1000, v103
	s_load_dwordx4 s[8:11], s[10:11], 0x0
	v_cmp_gt_u16_e32 vcc_lo, 0x58, v16
	s_waitcnt vmcnt(12)
	v_mul_f32_e32 v27, v1, v66
	v_mul_f32_e32 v14, v0, v66
	s_waitcnt vmcnt(11)
	v_mul_f32_e32 v29, v3, v68
	v_mul_f32_e32 v15, v2, v68
	v_fmac_f32_e32 v27, v0, v65
	v_fma_f32 v28, v1, v65, -v14
	s_waitcnt vmcnt(10)
	v_mul_f32_e32 v0, v5, v86
	v_mul_f32_e32 v1, v4, v86
	v_fmac_f32_e32 v29, v2, v67
	v_fma_f32 v30, v3, v67, -v15
	v_add_nc_u32_e32 v14, 0x2000, v103
	v_fmac_f32_e32 v0, v4, v85
	v_fma_f32 v1, v5, v85, -v1
	s_waitcnt vmcnt(9)
	v_mul_f32_e32 v2, v7, v82
	v_mul_f32_e32 v3, v6, v82
	s_waitcnt vmcnt(8)
	v_mul_f32_e32 v4, v9, v84
	v_mul_f32_e32 v5, v8, v84
	ds_write2_b64 v103, v[27:28], v[29:30] offset1:132
	v_fmac_f32_e32 v2, v6, v81
	s_waitcnt vmcnt(7)
	v_mul_f32_e32 v6, v20, v80
	v_fma_f32 v3, v7, v81, -v3
	v_mul_f32_e32 v7, v19, v80
	v_fmac_f32_e32 v4, v8, v83
	v_fma_f32 v5, v9, v83, -v5
	s_waitcnt vmcnt(6)
	v_mul_f32_e32 v15, v21, v74
	v_mul_f32_e32 v8, v22, v74
	v_fmac_f32_e32 v6, v19, v79
	v_fma_f32 v7, v20, v79, -v7
	v_fma_f32 v9, v22, v73, -v15
	s_waitcnt vmcnt(5)
	v_mul_f32_e32 v15, v23, v72
	v_mul_f32_e32 v19, v24, v72
	v_fmac_f32_e32 v8, v21, v73
	s_waitcnt vmcnt(4)
	v_mul_f32_e32 v22, v26, v70
	v_mul_f32_e32 v21, v25, v70
	v_fma_f32 v20, v24, v71, -v15
	s_waitcnt vmcnt(2)
	v_mul_f32_e32 v24, v11, v76
	v_mul_f32_e32 v15, v10, v76
	s_waitcnt vmcnt(0)
	v_mul_f32_e32 v27, v13, v78
	v_mul_f32_e32 v28, v12, v78
	v_fmac_f32_e32 v19, v23, v71
	v_fmac_f32_e32 v22, v25, v69
	v_fma_f32 v23, v26, v69, -v21
	v_fmac_f32_e32 v24, v10, v75
	v_fma_f32 v25, v11, v75, -v15
	;; [unrolled: 2-line block ×3, first 2 shown]
	ds_write2_b64 v18, v[0:1], v[2:3] offset0:8 offset1:140
	ds_write2_b64 v17, v[4:5], v[6:7] offset0:16 offset1:148
	;; [unrolled: 1-line block ×4, first 2 shown]
	ds_write_b64 v103, v[27:28] offset:10560
	s_waitcnt lgkmcnt(0)
	s_barrier
	buffer_gl0_inv
	ds_read2_b64 v[0:3], v103 offset1:132
	ds_read_b64 v[12:13], v103 offset:10560
	ds_read2_b64 v[8:11], v17 offset0:16 offset1:148
	ds_read2_b64 v[4:7], v31 offset0:24 offset1:156
	;; [unrolled: 1-line block ×4, first 2 shown]
	v_mul_lo_u16 v15, v16, 11
	v_add_nc_u32_e32 v27, 0x1c00, v103
	s_waitcnt lgkmcnt(0)
	s_barrier
	buffer_gl0_inv
	v_lshlrev_b32_sdwa v107, v40, v15 dst_sel:DWORD dst_unused:UNUSED_PAD src0_sel:DWORD src1_sel:WORD_0
	v_sub_f32_e32 v14, v3, v13
	v_sub_f32_e32 v15, v2, v12
	v_add_f32_e32 v28, v12, v2
	v_add_f32_e32 v29, v13, v3
	;; [unrolled: 1-line block ×4, first 2 shown]
	v_sub_f32_e32 v32, v8, v6
	v_sub_f32_e32 v33, v9, v7
	;; [unrolled: 1-line block ×3, first 2 shown]
	v_add_f32_e32 v2, v2, v19
	v_add_f32_e32 v3, v3, v20
	v_sub_f32_e32 v37, v11, v5
	v_sub_f32_e32 v41, v19, v25
	;; [unrolled: 1-line block ×5, first 2 shown]
	v_mul_f32_e32 v47, 0xbf0a6770, v14
	v_mul_f32_e32 v48, 0xbf0a6770, v15
	;; [unrolled: 1-line block ×8, first 2 shown]
	v_add_f32_e32 v2, v2, v21
	v_add_f32_e32 v3, v3, v22
	v_mul_f32_e32 v54, 0xbf4178ce, v15
	v_mul_f32_e32 v15, 0xbe903f40, v15
	v_add_f32_e32 v30, v6, v8
	v_add_f32_e32 v31, v7, v9
	;; [unrolled: 1-line block ×8, first 2 shown]
	v_mul_f32_e32 v19, 0xbf68dda4, v42
	v_mul_f32_e32 v20, 0xbf68dda4, v41
	;; [unrolled: 1-line block ×40, first 2 shown]
	v_fma_f32 v115, 0x3f575c64, v28, -v47
	v_fmamk_f32 v116, v29, 0x3f575c64, v48
	v_fmac_f32_e32 v47, 0x3f575c64, v28
	v_fma_f32 v48, 0x3f575c64, v29, -v48
	v_fma_f32 v117, 0x3ed4b147, v28, -v49
	v_fmamk_f32 v118, v29, 0x3ed4b147, v50
	v_fmac_f32_e32 v49, 0x3ed4b147, v28
	v_fma_f32 v50, 0x3ed4b147, v29, -v50
	v_fma_f32 v119, 0xbe11bafb, v28, -v51
	v_fmac_f32_e32 v51, 0xbe11bafb, v28
	v_fma_f32 v120, 0xbf27a4f4, v28, -v53
	v_fmac_f32_e32 v53, 0xbf27a4f4, v28
	;; [unrolled: 2-line block ×3, first 2 shown]
	v_fmamk_f32 v28, v29, 0xbe11bafb, v52
	v_fma_f32 v52, 0xbe11bafb, v29, -v52
	v_add_f32_e32 v2, v2, v8
	v_add_f32_e32 v3, v3, v9
	v_fmamk_f32 v122, v29, 0xbf27a4f4, v54
	v_fma_f32 v54, 0xbf27a4f4, v29, -v54
	v_fmamk_f32 v123, v29, 0xbf75a155, v15
	v_fma_f32 v15, 0xbf75a155, v29, -v15
	v_fma_f32 v21, 0x3ed4b147, v38, -v19
	v_fmamk_f32 v22, v39, 0x3ed4b147, v20
	v_fma_f32 v29, 0xbe11bafb, v43, -v55
	v_fmamk_f32 v124, v44, 0xbe11bafb, v56
	v_fma_f32 v125, 0xbf27a4f4, v30, -v57
	v_fmamk_f32 v126, v31, 0xbf27a4f4, v58
	v_fma_f32 v127, 0xbf75a155, v34, -v59
	v_fmamk_f32 v128, v35, 0xbf75a155, v60
	v_fmac_f32_e32 v19, 0x3ed4b147, v38
	v_fma_f32 v20, 0x3ed4b147, v39, -v20
	v_fmac_f32_e32 v55, 0xbe11bafb, v43
	v_fma_f32 v56, 0xbe11bafb, v44, -v56
	v_fmac_f32_e32 v57, 0xbf27a4f4, v30
	v_fma_f32 v58, 0xbf27a4f4, v31, -v58
	v_fmac_f32_e32 v59, 0xbf75a155, v34
	v_fma_f32 v60, 0xbf75a155, v35, -v60
	v_fma_f32 v129, 0xbf27a4f4, v38, -v61
	v_fmamk_f32 v130, v39, 0xbf27a4f4, v62
	v_fma_f32 v131, 0xbf75a155, v43, -v63
	v_fmamk_f32 v132, v44, 0xbf75a155, v89
	v_fma_f32 v133, 0xbe11bafb, v30, -v90
	v_fmamk_f32 v134, v31, 0xbe11bafb, v91
	v_fma_f32 v135, 0x3f575c64, v34, -v92
	v_fmamk_f32 v136, v35, 0x3f575c64, v93
	v_fmac_f32_e32 v61, 0xbf27a4f4, v38
	v_fma_f32 v62, 0xbf27a4f4, v39, -v62
	v_fmac_f32_e32 v63, 0xbf75a155, v43
	v_fma_f32 v89, 0xbf75a155, v44, -v89
	v_fmac_f32_e32 v90, 0xbe11bafb, v30
	v_fma_f32 v91, 0xbe11bafb, v31, -v91
	v_fmac_f32_e32 v92, 0x3f575c64, v34
	;; [unrolled: 16-line block ×5, first 2 shown]
	v_fma_f32 v31, 0xbe11bafb, v35, -v36
	v_add_f32_e32 v32, v0, v115
	v_add_f32_e32 v34, v1, v116
	;; [unrolled: 1-line block ×110, first 2 shown]
	ds_write2_b64 v107, v[2:3], v[4:5] offset0:2 offset1:3
	v_add_f32_e32 v2, v21, v12
	v_add_f32_e32 v3, v22, v13
	ds_write2_b64 v107, v[8:9], v[14:15] offset0:4 offset1:5
	ds_write2_b64 v107, v[19:20], v[10:11] offset0:6 offset1:7
	ds_write2_b64 v107, v[6:7], v[32:33] offset0:8 offset1:9
	ds_write_b64 v107, v[34:35] offset:80
	ds_write2_b64 v107, v[2:3], v[0:1] offset1:1
	s_waitcnt lgkmcnt(0)
	s_barrier
	buffer_gl0_inv
	ds_read2_b64 v[12:15], v103 offset1:132
	ds_read2_b64 v[8:11], v18 offset0:8 offset1:228
	ds_read2_b64 v[20:23], v27 offset0:72 offset1:204
	;; [unrolled: 1-line block ×3, first 2 shown]
	ds_read_b64 v[36:37], v103 offset:9856
                                        ; implicit-def: $vgpr38
	s_and_saveexec_b32 s0, vcc_lo
	s_cbranch_execz .LBB0_3
; %bb.2:
	ds_read_b64 v[32:33], v103 offset:3168
	ds_read_b64 v[34:35], v103 offset:7040
	;; [unrolled: 1-line block ×3, first 2 shown]
.LBB0_3:
	s_or_b32 exec_lo, exec_lo, s0
	v_add_co_u32 v89, null, 0x108, v104
	v_mov_b32_e32 v16, 0xba2f
	v_add_nc_u16 v0, v104, 0x18c
	v_add_co_u32 v19, null, 0x84, v104
	v_mov_b32_e32 v47, 33
	v_mul_u32_u24_sdwa v1, v89, v16 dst_sel:DWORD dst_unused:UNUSED_PAD src0_sel:WORD_0 src1_sel:DWORD
	v_mul_u32_u24_sdwa v2, v0, v16 dst_sel:DWORD dst_unused:UNUSED_PAD src0_sel:WORD_0 src1_sel:DWORD
	;; [unrolled: 1-line block ×3, first 2 shown]
	v_lshrrev_b32_e32 v41, 19, v1
	v_and_b32_e32 v1, 0xff, v104
	v_lshrrev_b32_e32 v108, 19, v2
	v_lshrrev_b32_e32 v44, 19, v16
	v_mul_lo_u16 v2, v41, 11
	v_mul_lo_u16 v1, 0x75, v1
	;; [unrolled: 1-line block ×3, first 2 shown]
	v_sub_nc_u16 v42, v89, v2
	v_lshrrev_b16 v17, 8, v1
	v_sub_nc_u16 v109, v0, v3
	v_lshlrev_b16 v0, 1, v42
	v_sub_nc_u16 v1, v104, v17
	v_lshlrev_b16 v2, 1, v109
	v_mad_u16 v41, v41, 33, v42
	v_lshlrev_b32_sdwa v0, v40, v0 dst_sel:DWORD dst_unused:UNUSED_PAD src0_sel:DWORD src1_sel:WORD_0
	v_lshrrev_b16 v1, 1, v1
	v_lshlrev_b32_sdwa v2, v40, v2 dst_sel:DWORD dst_unused:UNUSED_PAD src0_sel:DWORD src1_sel:WORD_0
	v_lshlrev_b32_sdwa v111, v40, v41 dst_sel:DWORD dst_unused:UNUSED_PAD src0_sel:DWORD src1_sel:WORD_0
	global_load_dwordx4 v[4:7], v0, s[2:3]
	v_and_b32_e32 v18, 0x7f, v1
	global_load_dwordx4 v[0:3], v2, s[2:3]
	v_add_nc_u16 v17, v18, v17
	v_lshrrev_b16 v43, 3, v17
	v_mul_lo_u16 v17, v44, 11
	v_mul_lo_u16 v16, v43, 11
	v_sub_nc_u16 v45, v19, v17
	v_mul_u32_u24_sdwa v42, v43, v47 dst_sel:DWORD dst_unused:UNUSED_PAD src0_sel:WORD_0 src1_sel:DWORD
	v_sub_nc_u16 v16, v104, v16
	v_mad_u16 v44, v44, 33, v45
	v_and_b32_e32 v46, 0xff, v16
	v_lshlrev_b16 v16, 1, v45
	v_lshlrev_b32_sdwa v112, v40, v44 dst_sel:DWORD dst_unused:UNUSED_PAD src0_sel:DWORD src1_sel:WORD_0
	v_lshlrev_b32_e32 v17, 4, v46
	v_lshlrev_b32_sdwa v16, v40, v16 dst_sel:DWORD dst_unused:UNUSED_PAD src0_sel:DWORD src1_sel:WORD_0
	s_clause 0x1
	global_load_dwordx4 v[24:27], v17, s[2:3]
	global_load_dwordx4 v[16:19], v16, s[2:3]
	v_add_lshl_u32 v113, v42, v46, 3
	s_waitcnt vmcnt(0) lgkmcnt(0)
	s_barrier
	buffer_gl0_inv
	v_mul_f32_e32 v42, v31, v5
	v_mul_f32_e32 v43, v30, v5
	;; [unrolled: 1-line block ×8, first 2 shown]
	v_fma_f32 v42, v30, v4, -v42
	v_fmac_f32_e32 v43, v31, v4
	v_fma_f32 v44, v36, v6, -v44
	v_fmac_f32_e32 v45, v37, v6
	;; [unrolled: 2-line block ×4, first 2 shown]
	v_add_f32_e32 v35, v42, v44
	v_sub_f32_e32 v46, v43, v45
	v_add_f32_e32 v39, v9, v43
	v_add_f32_e32 v43, v43, v45
	;; [unrolled: 1-line block ×3, first 2 shown]
	v_sub_f32_e32 v47, v42, v44
	v_add_f32_e32 v42, v31, v30
	v_fma_f32 v8, -0.5, v35, v8
	v_fmac_f32_e32 v9, -0.5, v43
	v_add_f32_e32 v48, v41, v40
	v_add_f32_e32 v38, v34, v44
	;; [unrolled: 1-line block ×3, first 2 shown]
	v_fma_f32 v34, -0.5, v42, v32
	v_fmamk_f32 v42, v46, 0x3f5db3d7, v8
	v_fmac_f32_e32 v8, 0xbf5db3d7, v46
	v_fmamk_f32 v43, v47, 0xbf5db3d7, v9
	v_fmac_f32_e32 v9, 0x3f5db3d7, v47
	v_fma_f32 v35, -0.5, v48, v33
	v_sub_f32_e32 v36, v41, v40
	v_mul_f32_e32 v44, v11, v25
	v_mul_f32_e32 v45, v10, v25
	;; [unrolled: 1-line block ×8, first 2 shown]
	v_fma_f32 v10, v10, v24, -v44
	v_fmac_f32_e32 v45, v11, v24
	v_fma_f32 v11, v20, v26, -v46
	v_fmac_f32_e32 v47, v21, v26
	;; [unrolled: 2-line block ×4, first 2 shown]
	v_add_f32_e32 v23, v10, v11
	v_add_f32_e32 v44, v45, v47
	;; [unrolled: 1-line block ×4, first 2 shown]
	v_sub_f32_e32 v50, v49, v51
	v_add_f32_e32 v49, v49, v51
	v_sub_f32_e32 v37, v31, v30
	v_add_f32_e32 v22, v12, v10
	;; [unrolled: 2-line block ×3, first 2 shown]
	v_sub_f32_e32 v45, v10, v11
	v_fma_f32 v12, -0.5, v23, v12
	v_fma_f32 v13, -0.5, v44, v13
	v_add_f32_e32 v46, v14, v20
	v_sub_f32_e32 v53, v20, v21
	v_fma_f32 v14, -0.5, v48, v14
	v_fmac_f32_e32 v15, -0.5, v49
	v_fmamk_f32 v95, v36, 0xbf5db3d7, v34
	v_add_f32_e32 v10, v22, v11
	v_add_f32_e32 v11, v29, v47
	v_fmamk_f32 v22, v28, 0x3f5db3d7, v12
	v_fmamk_f32 v23, v45, 0xbf5db3d7, v13
	;; [unrolled: 1-line block ×3, first 2 shown]
	v_fmac_f32_e32 v12, 0xbf5db3d7, v28
	v_fmac_f32_e32 v13, 0x3f5db3d7, v45
	v_add_f32_e32 v20, v46, v21
	v_add_f32_e32 v21, v52, v51
	v_fmamk_f32 v28, v50, 0x3f5db3d7, v14
	v_fmamk_f32 v29, v53, 0xbf5db3d7, v15
	v_fmac_f32_e32 v14, 0xbf5db3d7, v50
	v_fmac_f32_e32 v15, 0x3f5db3d7, v53
	ds_write2_b64 v113, v[10:11], v[22:23] offset1:11
	ds_write_b64 v113, v[12:13] offset:176
	ds_write2_b64 v112, v[20:21], v[28:29] offset1:11
	ds_write_b64 v112, v[14:15] offset:176
	;; [unrolled: 2-line block ×3, first 2 shown]
	s_and_saveexec_b32 s0, vcc_lo
	s_cbranch_execz .LBB0_5
; %bb.4:
	v_mul_f32_e32 v8, 0x3f5db3d7, v36
	v_mul_f32_e32 v9, 0x3f5db3d7, v37
	v_add_f32_e32 v10, v33, v41
	v_add_f32_e32 v12, v32, v31
	v_mad_u16 v13, v108, 33, v109
	v_mov_b32_e32 v14, 3
	v_sub_f32_e32 v9, v35, v9
	v_add_f32_e32 v8, v8, v34
	v_add_f32_e32 v11, v10, v40
	;; [unrolled: 1-line block ×3, first 2 shown]
	v_lshlrev_b32_sdwa v12, v14, v13 dst_sel:DWORD dst_unused:UNUSED_PAD src0_sel:DWORD src1_sel:WORD_0
	ds_write2_b64 v12, v[10:11], v[8:9] offset1:11
	ds_write_b64 v12, v[95:96] offset:176
.LBB0_5:
	s_or_b32 exec_lo, exec_lo, s0
	v_and_b32_e32 v8, 0xff, v104
	s_waitcnt lgkmcnt(0)
	s_barrier
	buffer_gl0_inv
	v_mov_b32_e32 v50, 0x16b
	v_mul_lo_u16 v8, 0xf9, v8
	v_add_nc_u32_e32 v40, 0x800, v103
	v_add_nc_u32_e32 v46, 0x1000, v103
	;; [unrolled: 1-line block ×4, first 2 shown]
	v_lshrrev_b16 v41, 13, v8
	v_cmp_gt_u16_e64 s0, 0x63, v104
	v_mul_lo_u16 v8, v41, 33
	v_mul_u32_u24_sdwa v55, v41, v50 dst_sel:DWORD dst_unused:UNUSED_PAD src0_sel:WORD_0 src1_sel:DWORD
	v_add_nc_u32_e32 v41, 0x2000, v103
	v_sub_nc_u16 v8, v104, v8
	v_and_b32_e32 v54, 0xff, v8
	v_mad_u64_u32 v[20:21], null, 0x50, v54, s[2:3]
	v_add_lshl_u32 v110, v55, v54, 3
	s_clause 0x4
	global_load_dwordx4 v[32:35], v[20:21], off offset:176
	global_load_dwordx4 v[28:31], v[20:21], off offset:192
	;; [unrolled: 1-line block ×5, first 2 shown]
	ds_read2_b64 v[36:39], v103 offset1:132
	ds_read2_b64 v[42:45], v40 offset0:8 offset1:140
	ds_read2_b64 v[46:49], v46 offset0:16 offset1:148
	ds_read2_b64 v[50:53], v51 offset0:24 offset1:156
	ds_read_b64 v[58:59], v103 offset:10560
	ds_read2_b64 v[54:57], v41 offset0:32 offset1:164
	v_add_nc_u32_e32 v61, 0x800, v110
	s_waitcnt vmcnt(0) lgkmcnt(0)
	s_barrier
	buffer_gl0_inv
	v_mul_f32_e32 v62, v39, v33
	v_mul_f32_e32 v63, v38, v33
	;; [unrolled: 1-line block ×14, first 2 shown]
	v_fma_f32 v38, v38, v32, -v62
	v_fmac_f32_e32 v63, v39, v32
	v_mul_f32_e32 v97, v46, v31
	v_mul_f32_e32 v101, v50, v15
	;; [unrolled: 1-line block ×6, first 2 shown]
	v_fma_f32 v39, v42, v34, -v90
	v_fmac_f32_e32 v91, v43, v34
	v_fma_f32 v42, v44, v28, -v92
	v_fmac_f32_e32 v93, v45, v28
	v_fma_f32 v43, v46, v30, -v94
	v_fma_f32 v44, v48, v12, -v98
	v_fmac_f32_e32 v99, v49, v12
	v_fma_f32 v45, v50, v14, -v100
	v_fma_f32 v46, v52, v8, -v102
	;; [unrolled: 1-line block ×4, first 2 shown]
	v_fmac_f32_e32 v120, v59, v22
	v_add_f32_e32 v48, v36, v38
	v_add_f32_e32 v49, v37, v63
	v_fmac_f32_e32 v97, v47, v30
	v_fmac_f32_e32 v101, v51, v14
	;; [unrolled: 1-line block ×3, first 2 shown]
	v_fma_f32 v47, v54, v10, -v115
	v_fmac_f32_e32 v116, v55, v10
	v_fmac_f32_e32 v118, v57, v20
	v_add_f32_e32 v51, v38, v52
	v_sub_f32_e32 v38, v38, v52
	v_sub_f32_e32 v54, v63, v120
	v_add_f32_e32 v55, v39, v50
	v_sub_f32_e32 v57, v39, v50
	v_add_f32_e32 v39, v48, v39
	v_add_f32_e32 v48, v49, v91
	;; [unrolled: 1-line block ×4, first 2 shown]
	v_sub_f32_e32 v58, v91, v118
	v_add_f32_e32 v59, v42, v47
	v_sub_f32_e32 v62, v93, v116
	v_sub_f32_e32 v63, v42, v47
	;; [unrolled: 1-line block ×6, first 2 shown]
	v_mul_f32_e32 v49, 0xbf0a6770, v54
	v_mul_f32_e32 v91, 0xbf0a6770, v38
	;; [unrolled: 1-line block ×9, first 2 shown]
	v_add_f32_e32 v39, v39, v42
	v_add_f32_e32 v42, v48, v93
	v_mul_f32_e32 v54, 0xbe903f40, v54
	v_add_f32_e32 v90, v93, v116
	v_add_f32_e32 v94, v43, v46
	;; [unrolled: 1-line block ×5, first 2 shown]
	v_mul_f32_e32 v127, 0xbf68dda4, v58
	v_mul_f32_e32 v128, 0xbf68dda4, v57
	;; [unrolled: 1-line block ×40, first 2 shown]
	v_fma_f32 v159, 0x3f575c64, v51, -v49
	v_fmamk_f32 v160, v53, 0x3f575c64, v91
	v_fmac_f32_e32 v49, 0x3f575c64, v51
	v_fma_f32 v91, 0x3f575c64, v53, -v91
	v_fma_f32 v161, 0x3ed4b147, v51, -v121
	v_fmamk_f32 v162, v53, 0x3ed4b147, v122
	v_fmac_f32_e32 v121, 0x3ed4b147, v51
	v_fma_f32 v122, 0x3ed4b147, v53, -v122
	v_fma_f32 v163, 0xbe11bafb, v51, -v123
	v_fmamk_f32 v164, v53, 0xbe11bafb, v124
	v_fma_f32 v124, 0xbe11bafb, v53, -v124
	v_fma_f32 v165, 0xbf27a4f4, v51, -v125
	v_fmamk_f32 v166, v53, 0xbf27a4f4, v126
	v_fma_f32 v126, 0xbf27a4f4, v53, -v126
	v_fmamk_f32 v168, v53, 0xbf75a155, v38
	v_fma_f32 v38, 0xbf75a155, v53, -v38
	v_add_f32_e32 v39, v39, v43
	v_add_f32_e32 v42, v42, v97
	v_fmac_f32_e32 v123, 0xbe11bafb, v51
	v_fma_f32 v167, 0xbf75a155, v51, -v54
	v_fmac_f32_e32 v125, 0xbf27a4f4, v51
	v_fmac_f32_e32 v54, 0xbf75a155, v51
	v_fma_f32 v51, 0x3ed4b147, v55, -v127
	v_fmamk_f32 v53, v56, 0x3ed4b147, v128
	v_fmac_f32_e32 v127, 0x3ed4b147, v55
	v_fma_f32 v128, 0x3ed4b147, v56, -v128
	v_fma_f32 v169, 0xbf27a4f4, v55, -v129
	v_fmamk_f32 v170, v56, 0xbf27a4f4, v130
	v_fmac_f32_e32 v129, 0xbf27a4f4, v55
	v_fma_f32 v130, 0xbf27a4f4, v56, -v130
	;; [unrolled: 4-line block ×5, first 2 shown]
	v_fma_f32 v56, 0xbe11bafb, v59, -v135
	v_fmac_f32_e32 v135, 0xbe11bafb, v59
	v_fma_f32 v57, 0xbf75a155, v59, -v136
	v_fmac_f32_e32 v136, 0xbf75a155, v59
	v_fma_f32 v177, 0x3ed4b147, v59, -v137
	v_fmac_f32_e32 v137, 0x3ed4b147, v59
	v_fma_f32 v178, 0x3f575c64, v59, -v138
	v_fmac_f32_e32 v138, 0x3f575c64, v59
	v_fma_f32 v179, 0xbf27a4f4, v59, -v62
	v_fmac_f32_e32 v62, 0xbf27a4f4, v59
	v_fmamk_f32 v48, v90, 0xbe11bafb, v139
	v_fma_f32 v59, 0xbe11bafb, v90, -v139
	v_fmamk_f32 v93, v90, 0xbf75a155, v140
	v_fma_f32 v139, 0xbf75a155, v90, -v140
	v_fmamk_f32 v140, v90, 0x3ed4b147, v141
	v_fma_f32 v141, 0x3ed4b147, v90, -v141
	v_fmamk_f32 v180, v90, 0x3f575c64, v142
	v_fma_f32 v142, 0x3f575c64, v90, -v142
	v_fmamk_f32 v181, v90, 0xbf27a4f4, v63
	v_fma_f32 v63, 0xbf27a4f4, v90, -v63
	v_fma_f32 v90, 0xbf27a4f4, v94, -v143
	v_fmac_f32_e32 v143, 0xbf27a4f4, v94
	v_fma_f32 v182, 0xbe11bafb, v94, -v144
	v_fmac_f32_e32 v144, 0xbe11bafb, v94
	v_fma_f32 v183, 0x3f575c64, v94, -v145
	v_fmac_f32_e32 v145, 0x3f575c64, v94
	v_fma_f32 v184, 0xbf75a155, v94, -v146
	v_fmac_f32_e32 v146, 0xbf75a155, v94
	v_fma_f32 v185, 0x3ed4b147, v94, -v92
	v_fmac_f32_e32 v92, 0x3ed4b147, v94
	v_fmamk_f32 v94, v100, 0xbf27a4f4, v147
	v_fma_f32 v147, 0xbf27a4f4, v100, -v147
	v_fmamk_f32 v186, v100, 0xbe11bafb, v148
	v_fma_f32 v148, 0xbe11bafb, v100, -v148
	v_fmamk_f32 v187, v100, 0x3f575c64, v149
	v_fma_f32 v149, 0x3f575c64, v100, -v149
	v_fmamk_f32 v188, v100, 0xbf75a155, v150
	v_fma_f32 v150, 0xbf75a155, v100, -v150
	v_fmamk_f32 v189, v100, 0x3ed4b147, v98
	v_fma_f32 v98, 0x3ed4b147, v100, -v98
	;; [unrolled: 20-line block ×3, first 2 shown]
	v_add_f32_e32 v119, v36, v159
	v_add_f32_e32 v159, v37, v160
	v_add_f32_e32 v49, v36, v49
	v_add_f32_e32 v91, v37, v91
	v_add_f32_e32 v160, v36, v161
	v_add_f32_e32 v161, v37, v162
	v_add_f32_e32 v121, v36, v121
	v_add_f32_e32 v122, v37, v122
	v_add_f32_e32 v162, v36, v163
	v_add_f32_e32 v163, v37, v164
	v_add_f32_e32 v124, v37, v124
	v_add_f32_e32 v164, v36, v165
	v_add_f32_e32 v165, v37, v166
	v_add_f32_e32 v126, v37, v126
	v_add_f32_e32 v43, v37, v168
	v_add_f32_e32 v37, v37, v38
	v_add_f32_e32 v38, v39, v44
	v_add_f32_e32 v39, v42, v99
	v_add_f32_e32 v123, v36, v123
	v_add_f32_e32 v166, v36, v167
	v_add_f32_e32 v125, v36, v125
	v_add_f32_e32 v36, v36, v54
	v_add_f32_e32 v42, v51, v119
	v_add_f32_e32 v44, v53, v159
	v_add_f32_e32 v49, v127, v49
	v_add_f32_e32 v51, v128, v91
	v_add_f32_e32 v53, v169, v160
	v_add_f32_e32 v54, v170, v161
	v_add_f32_e32 v91, v129, v121
	v_add_f32_e32 v97, v130, v122
	v_add_f32_e32 v99, v171, v162
	v_add_f32_e32 v119, v172, v163
	v_add_f32_e32 v38, v38, v45
	v_add_f32_e32 v39, v39, v101
	v_add_f32_e32 v121, v131, v123
	v_add_f32_e32 v122, v132, v124
	v_add_f32_e32 v123, v173, v164
	v_add_f32_e32 v124, v174, v165
	v_add_f32_e32 v127, v175, v166
	v_add_f32_e32 v43, v176, v43
	v_add_f32_e32 v125, v133, v125
	v_add_f32_e32 v126, v134, v126
	v_add_f32_e32 v36, v58, v36
	v_add_f32_e32 v37, v55, v37
	v_add_f32_e32 v42, v56, v42
	v_add_f32_e32 v44, v48, v44
	v_add_f32_e32 v45, v135, v49
	v_add_f32_e32 v48, v59, v51
	v_add_f32_e32 v49, v57, v53
	v_add_f32_e32 v51, v93, v54
	v_add_f32_e32 v53, v136, v91
	v_add_f32_e32 v54, v139, v97
	v_add_f32_e32 v55, v177, v99
	v_add_f32_e32 v56, v140, v119
	v_add_f32_e32 v38, v38, v46
	v_add_f32_e32 v39, v39, v114
	v_add_f32_e32 v57, v137, v121
	v_add_f32_e32 v58, v141, v122
	v_add_f32_e32 v59, v178, v123
	v_add_f32_e32 v91, v180, v124
	v_add_f32_e32 v99, v179, v127
	v_add_f32_e32 v43, v181, v43
	v_add_f32_e32 v93, v138, v125
	v_add_f32_e32 v97, v142, v126
	v_add_f32_e32 v36, v62, v36
	v_add_f32_e32 v37, v63, v37
	v_add_f32_e32 v42, v90, v42
	v_add_f32_e32 v44, v94, v44
	v_add_f32_e32 v46, v147, v48
	v_add_f32_e32 v48, v182, v49
	v_add_f32_e32 v49, v186, v51
	v_add_f32_e32 v51, v144, v53
	v_add_f32_e32 v53, v148, v54
	v_add_f32_e32 v54, v183, v55
	v_add_f32_e32 v55, v187, v56
	v_add_f32_e32 v94, v38, v47
	v_add_f32_e32 v114, v39, v116
	v_add_f32_e32 v45, v143, v45
	v_add_f32_e32 v56, v145, v57
	v_add_f32_e32 v57, v149, v58
	v_add_f32_e32 v58, v184, v59
	v_add_f32_e32 v59, v188, v91
	v_add_f32_e32 v90, v185, v99
	v_add_f32_e32 v91, v189, v43
	v_add_f32_e32 v62, v146, v93
	v_add_f32_e32 v63, v150, v97
	v_add_f32_e32 v92, v92, v36
	v_add_f32_e32 v93, v98, v37
	v_add_f32_e32 v36, v100, v42
	v_add_f32_e32 v100, v102, v46
	v_add_f32_e32 v38, v190, v48
	v_add_f32_e32 v39, v194, v49
	v_add_f32_e32 v102, v156, v53
	v_add_f32_e32 v42, v191, v54
	v_add_f32_e32 v43, v195, v55
	v_add_f32_e32 v53, v94, v50
	v_add_f32_e32 v54, v114, v118
	v_add_f32_e32 v37, v115, v44
	v_add_f32_e32 v99, v151, v45
	v_add_f32_e32 v44, v192, v58
	v_add_f32_e32 v45, v196, v59
	v_add_f32_e32 v48, v193, v90
	v_add_f32_e32 v49, v197, v91
	v_add_f32_e32 v101, v152, v51
	v_add_f32_e32 v46, v154, v62
	v_add_f32_e32 v47, v158, v63
	v_add_f32_e32 v50, v155, v92
	v_add_f32_e32 v51, v117, v93
	v_add_f32_e32 v97, v153, v56
	v_add_f32_e32 v98, v157, v57
	ds_write2_b64 v110, v[38:39], v[42:43] offset0:66 offset1:99
	v_add_f32_e32 v38, v53, v52
	v_add_f32_e32 v39, v54, v120
	ds_write2_b64 v110, v[44:45], v[48:49] offset0:132 offset1:165
	ds_write2_b64 v110, v[50:51], v[46:47] offset0:198 offset1:231
	;; [unrolled: 1-line block ×3, first 2 shown]
	ds_write_b64 v110, v[99:100] offset:2640
	ds_write2_b64 v110, v[38:39], v[36:37] offset1:33
	s_waitcnt lgkmcnt(0)
	s_barrier
	buffer_gl0_inv
	ds_read2_b64 v[48:51], v103 offset1:132
	ds_read2_b64 v[56:59], v40 offset0:107 offset1:239
	ds_read2_b64 v[52:55], v60 offset0:86 offset1:218
	;; [unrolled: 1-line block ×3, first 2 shown]
	s_and_saveexec_b32 s1, s0
	s_cbranch_execz .LBB0_7
; %bb.6:
	ds_read_b64 v[97:98], v103 offset:2112
	ds_read_b64 v[101:102], v103 offset:5016
	ds_read_b64 v[99:100], v103 offset:7920
	ds_read_b64 v[95:96], v103 offset:10824
.LBB0_7:
	s_or_b32 exec_lo, exec_lo, s1
	v_mad_u64_u32 v[36:37], null, v104, 24, s[2:3]
	v_add_nc_u32_e32 v90, 0xffffff9d, v104
	v_add_co_u32 v38, s1, 0x800, v36
	v_add_co_ci_u32_e64 v39, s1, 0, v37, s1
	v_add_co_u32 v44, s1, 0xb00, v36
	v_add_co_ci_u32_e64 v45, s1, 0, v37, s1
	s_clause 0x1
	global_load_dwordx4 v[40:43], v[38:39], off offset:768
	global_load_dwordx2 v[91:92], v[44:45], off offset:16
	v_add_co_u32 v38, s1, 0x1000, v36
	v_add_co_ci_u32_e64 v39, s1, 0, v37, s1
	v_add_co_u32 v36, s1, 0x1760, v36
	v_add_co_ci_u32_e64 v37, s1, 0, v37, s1
	s_clause 0x1
	global_load_dwordx4 v[44:47], v[38:39], off offset:1888
	global_load_dwordx2 v[93:94], v[36:37], off offset:16
	v_cndmask_b32_e64 v38, v90, v89, s0
	v_mul_i32_i24_e32 v36, 24, v38
	v_mul_hi_i32_i24_e32 v37, 24, v38
	v_add_co_u32 v38, s1, s2, v36
	v_add_co_ci_u32_e64 v39, s1, s3, v37, s1
	v_add_co_u32 v36, s1, 0x800, v38
	v_add_co_ci_u32_e64 v37, s1, 0, v39, s1
	;; [unrolled: 2-line block ×3, first 2 shown]
	s_clause 0x1
	global_load_dwordx4 v[36:39], v[36:37], off offset:768
	global_load_dwordx2 v[89:90], v[89:90], off offset:16
	s_waitcnt vmcnt(5) lgkmcnt(2)
	v_mul_f32_e32 v114, v57, v41
	v_mul_f32_e32 v115, v56, v41
	s_waitcnt lgkmcnt(1)
	v_mul_f32_e32 v116, v53, v43
	v_mul_f32_e32 v117, v52, v43
	s_waitcnt vmcnt(4) lgkmcnt(0)
	v_mul_f32_e32 v118, v61, v92
	v_mul_f32_e32 v119, v60, v92
	v_fma_f32 v56, v56, v40, -v114
	v_fmac_f32_e32 v115, v57, v40
	v_fma_f32 v52, v52, v42, -v116
	v_fmac_f32_e32 v117, v53, v42
	s_waitcnt vmcnt(3)
	v_mul_f32_e32 v120, v59, v45
	v_mul_f32_e32 v121, v58, v45
	;; [unrolled: 1-line block ×4, first 2 shown]
	s_waitcnt vmcnt(2)
	v_mul_f32_e32 v124, v63, v94
	v_mul_f32_e32 v125, v62, v94
	v_fma_f32 v53, v60, v91, -v118
	v_fmac_f32_e32 v119, v61, v91
	v_fma_f32 v57, v58, v44, -v120
	v_fmac_f32_e32 v121, v59, v44
	;; [unrolled: 2-line block ×4, first 2 shown]
	v_sub_f32_e32 v59, v48, v52
	v_sub_f32_e32 v60, v49, v117
	;; [unrolled: 1-line block ×8, first 2 shown]
	v_fma_f32 v120, v48, 2.0, -v59
	v_fma_f32 v122, v49, 2.0, -v60
	;; [unrolled: 1-line block ×4, first 2 shown]
	v_sub_f32_e32 v53, v59, v53
	v_add_f32_e32 v54, v60, v58
	s_waitcnt vmcnt(1)
	v_mul_f32_e32 v62, v102, v37
	v_mul_f32_e32 v52, v101, v37
	;; [unrolled: 1-line block ×4, first 2 shown]
	s_waitcnt vmcnt(0)
	v_mul_f32_e32 v118, v96, v90
	v_mul_f32_e32 v119, v95, v90
	v_fma_f32 v123, v50, 2.0, -v63
	v_fma_f32 v124, v51, 2.0, -v114
	;; [unrolled: 1-line block ×4, first 2 shown]
	v_fma_f32 v48, v101, v36, -v62
	v_fmac_f32_e32 v52, v102, v36
	v_fma_f32 v101, v99, v38, -v116
	v_fmac_f32_e32 v117, v100, v38
	;; [unrolled: 2-line block ×3, first 2 shown]
	v_add_f32_e32 v56, v114, v61
	v_sub_f32_e32 v57, v120, v49
	v_sub_f32_e32 v58, v122, v115
	v_fma_f32 v59, v59, 2.0, -v53
	v_sub_f32_e32 v61, v123, v50
	v_sub_f32_e32 v62, v124, v51
	ds_write_b64 v103, v[53:54] offset:8712
	v_sub_f32_e32 v49, v97, v101
	v_sub_f32_e32 v50, v98, v117
	;; [unrolled: 1-line block ×5, first 2 shown]
	v_fma_f32 v60, v60, 2.0, -v54
	v_fma_f32 v100, v114, 2.0, -v56
	;; [unrolled: 1-line block ×6, first 2 shown]
	v_sub_f32_e32 v95, v49, v53
	v_add_f32_e32 v96, v50, v51
	v_fma_f32 v99, v63, 2.0, -v55
	ds_write_b64 v103, v[59:60] offset:2904
	ds_write_b64 v103, v[57:58] offset:5808
	ds_write2_b64 v103, v[101:102], v[114:115] offset1:132
	ds_write_b64 v103, v[99:100] offset:3960
	ds_write_b64 v103, v[61:62] offset:6864
	;; [unrolled: 1-line block ×3, first 2 shown]
	s_and_saveexec_b32 s1, s0
	s_cbranch_execz .LBB0_9
; %bb.8:
	v_fma_f32 v54, v98, 2.0, -v50
	v_fma_f32 v52, v52, 2.0, -v53
	;; [unrolled: 1-line block ×6, first 2 shown]
	v_sub_f32_e32 v52, v54, v52
	v_sub_f32_e32 v51, v53, v48
	v_fma_f32 v54, v54, 2.0, -v52
	v_fma_f32 v53, v53, 2.0, -v51
	ds_write_b64 v103, v[49:50] offset:5016
	ds_write_b64 v103, v[51:52] offset:7920
	;; [unrolled: 1-line block ×4, first 2 shown]
.LBB0_9:
	s_or_b32 exec_lo, exec_lo, s1
	v_add_co_u32 v48, s1, 0x2d60, v105
	v_add_co_ci_u32_e64 v49, s1, 0, v106, s1
	s_waitcnt lgkmcnt(0)
	s_barrier
	buffer_gl0_inv
	s_clause 0x1
	global_load_dwordx2 v[52:53], v[87:88], off offset:1376
	global_load_dwordx2 v[54:55], v[48:49], off offset:1056
	v_add_co_u32 v48, s1, 0x3000, v105
	v_add_co_ci_u32_e64 v49, s1, 0, v106, s1
	v_add_co_u32 v50, s1, 0x3800, v105
	v_add_co_ci_u32_e64 v51, s1, 0, v106, s1
	;; [unrolled: 2-line block ×3, first 2 shown]
	global_load_dwordx2 v[87:88], v[48:49], off offset:1440
	v_add_co_u32 v48, s1, 0x4800, v105
	v_add_co_ci_u32_e64 v49, s1, 0, v106, s1
	s_clause 0x3
	global_load_dwordx2 v[97:98], v[50:51], off offset:448
	global_load_dwordx2 v[99:100], v[50:51], off offset:1504
	;; [unrolled: 1-line block ×4, first 2 shown]
	v_add_co_u32 v50, s1, 0x5000, v105
	v_add_co_ci_u32_e64 v51, s1, 0, v106, s1
	s_clause 0x3
	global_load_dwordx2 v[105:106], v[48:49], off offset:576
	global_load_dwordx2 v[118:119], v[48:49], off offset:1632
	;; [unrolled: 1-line block ×4, first 2 shown]
	ds_read2_b64 v[48:51], v103 offset1:132
	v_add_nc_u32_e32 v102, 0x800, v103
	v_add_nc_u32_e32 v101, 0x1000, v103
	;; [unrolled: 1-line block ×4, first 2 shown]
	s_waitcnt vmcnt(10) lgkmcnt(0)
	v_mul_f32_e32 v57, v49, v53
	v_mul_f32_e32 v56, v48, v53
	s_waitcnt vmcnt(9)
	v_mul_f32_e32 v58, v51, v55
	v_mul_f32_e32 v53, v50, v55
	v_fma_f32 v55, v48, v52, -v57
	v_fmac_f32_e32 v56, v49, v52
	v_fma_f32 v52, v50, v54, -v58
	v_fmac_f32_e32 v53, v51, v54
	ds_write2_b64 v103, v[55:56], v[52:53] offset1:132
	ds_read2_b64 v[48:51], v102 offset0:8 offset1:140
	ds_read2_b64 v[52:55], v101 offset0:16 offset1:148
	;; [unrolled: 1-line block ×4, first 2 shown]
	ds_read_b64 v[124:125], v103 offset:10560
	s_waitcnt vmcnt(4) lgkmcnt(2)
	v_mul_f32_e32 v133, v57, v117
	v_mul_f32_e32 v126, v49, v88
	;; [unrolled: 1-line block ×10, first 2 shown]
	s_waitcnt vmcnt(3)
	v_mul_f32_e32 v134, v59, v106
	v_mul_f32_e32 v117, v58, v106
	s_waitcnt vmcnt(2) lgkmcnt(1)
	v_mul_f32_e32 v135, v61, v119
	v_mul_f32_e32 v106, v60, v119
	s_waitcnt vmcnt(1)
	v_mul_f32_e32 v136, v63, v121
	v_mul_f32_e32 v119, v62, v121
	s_waitcnt vmcnt(0) lgkmcnt(0)
	v_mul_f32_e32 v137, v125, v123
	v_mul_f32_e32 v121, v124, v123
	v_fma_f32 v126, v48, v87, -v126
	v_fmac_f32_e32 v127, v49, v87
	v_fma_f32 v87, v50, v97, -v130
	v_fmac_f32_e32 v88, v51, v97
	;; [unrolled: 2-line block ×9, first 2 shown]
	ds_write2_b64 v102, v[126:127], v[87:88] offset0:8 offset1:140
	ds_write2_b64 v101, v[97:98], v[99:100] offset0:16 offset1:148
	;; [unrolled: 1-line block ×4, first 2 shown]
	ds_write_b64 v103, v[120:121] offset:10560
	s_waitcnt lgkmcnt(0)
	s_barrier
	buffer_gl0_inv
	ds_read2_b64 v[56:59], v103 offset1:132
	ds_read_b64 v[87:88], v103 offset:10560
	ds_read2_b64 v[97:100], v102 offset0:8 offset1:140
	ds_read2_b64 v[48:51], v129 offset0:32 offset1:164
	;; [unrolled: 1-line block ×4, first 2 shown]
	v_add_nc_u32_e32 v105, 0x1c00, v103
	s_waitcnt lgkmcnt(0)
	s_barrier
	buffer_gl0_inv
	v_add_f32_e32 v106, v56, v58
	v_add_f32_e32 v114, v57, v59
	;; [unrolled: 1-line block ×3, first 2 shown]
	v_sub_f32_e32 v59, v59, v88
	v_add_f32_e32 v117, v50, v97
	v_add_f32_e32 v118, v51, v98
	v_sub_f32_e32 v119, v97, v50
	v_sub_f32_e32 v120, v98, v51
	v_add_f32_e32 v97, v106, v97
	v_add_f32_e32 v98, v114, v98
	;; [unrolled: 1-line block ×3, first 2 shown]
	v_sub_f32_e32 v58, v58, v87
	v_add_f32_e32 v122, v49, v100
	v_sub_f32_e32 v124, v100, v49
	v_add_f32_e32 v126, v55, v61
	;; [unrolled: 2-line block ×3, first 2 shown]
	v_sub_f32_e32 v132, v63, v53
	v_mul_f32_e32 v106, 0xbf0a6770, v59
	v_mul_f32_e32 v114, 0x3f575c64, v116
	;; [unrolled: 1-line block ×10, first 2 shown]
	v_add_f32_e32 v97, v97, v99
	v_add_f32_e32 v98, v98, v100
	;; [unrolled: 1-line block ×3, first 2 shown]
	v_sub_f32_e32 v123, v99, v48
	v_add_f32_e32 v125, v54, v60
	v_sub_f32_e32 v127, v60, v54
	v_add_f32_e32 v129, v52, v62
	v_sub_f32_e32 v131, v62, v52
	v_mul_f32_e32 v139, 0xbf68dda4, v120
	v_mul_f32_e32 v140, 0x3ed4b147, v118
	;; [unrolled: 1-line block ×40, first 2 shown]
	v_fmamk_f32 v99, v115, 0x3f575c64, v106
	v_fmamk_f32 v100, v58, 0x3f0a6770, v114
	v_fma_f32 v106, 0x3f575c64, v115, -v106
	v_fmac_f32_e32 v114, 0xbf0a6770, v58
	v_fmamk_f32 v171, v115, 0x3ed4b147, v133
	v_fmamk_f32 v172, v58, 0x3f68dda4, v134
	v_fma_f32 v133, 0x3ed4b147, v115, -v133
	v_fmac_f32_e32 v134, 0xbf68dda4, v58
	;; [unrolled: 4-line block ×5, first 2 shown]
	v_add_f32_e32 v60, v97, v60
	v_add_f32_e32 v61, v98, v61
	v_fmamk_f32 v58, v117, 0x3ed4b147, v139
	v_fmamk_f32 v115, v119, 0x3f68dda4, v140
	v_fma_f32 v139, 0x3ed4b147, v117, -v139
	v_fmac_f32_e32 v140, 0xbf68dda4, v119
	v_fmamk_f32 v179, v117, 0xbf27a4f4, v141
	v_fmamk_f32 v180, v119, 0x3f4178ce, v142
	v_fma_f32 v141, 0xbf27a4f4, v117, -v141
	v_fmac_f32_e32 v142, 0xbf4178ce, v119
	v_fmamk_f32 v181, v117, 0xbf75a155, v143
	v_fmamk_f32 v182, v119, 0xbe903f40, v144
	v_fma_f32 v143, 0xbf75a155, v117, -v143
	v_fmac_f32_e32 v144, 0x3e903f40, v119
	v_fmamk_f32 v183, v117, 0xbe11bafb, v145
	v_fmamk_f32 v184, v119, 0xbf7d64f0, v146
	v_fma_f32 v145, 0xbe11bafb, v117, -v145
	v_fmac_f32_e32 v146, 0x3f7d64f0, v119
	v_fmamk_f32 v185, v117, 0x3f575c64, v120
	v_fmamk_f32 v186, v119, 0xbf0a6770, v118
	v_fma_f32 v117, 0x3f575c64, v117, -v120
	v_fmac_f32_e32 v118, 0x3f0a6770, v119
	v_fmamk_f32 v119, v121, 0xbe11bafb, v147
	v_fmamk_f32 v120, v123, 0x3f7d64f0, v148
	v_fma_f32 v147, 0xbe11bafb, v121, -v147
	v_fmac_f32_e32 v148, 0xbf7d64f0, v123
	v_fmamk_f32 v187, v121, 0xbf75a155, v149
	v_fmamk_f32 v188, v123, 0xbe903f40, v150
	v_fma_f32 v149, 0xbf75a155, v121, -v149
	v_fmac_f32_e32 v150, 0x3e903f40, v123
	v_fmamk_f32 v189, v121, 0x3ed4b147, v151
	v_fmamk_f32 v190, v123, 0xbf68dda4, v152
	v_fma_f32 v151, 0x3ed4b147, v121, -v151
	v_fmac_f32_e32 v152, 0x3f68dda4, v123
	v_fmamk_f32 v191, v121, 0x3f575c64, v153
	v_fmamk_f32 v192, v123, 0x3f0a6770, v154
	v_fma_f32 v153, 0x3f575c64, v121, -v153
	v_fmac_f32_e32 v154, 0xbf0a6770, v123
	v_fmamk_f32 v193, v121, 0xbf27a4f4, v124
	v_fmamk_f32 v194, v123, 0x3f4178ce, v122
	v_fma_f32 v121, 0xbf27a4f4, v121, -v124
	v_fmac_f32_e32 v122, 0xbf4178ce, v123
	v_fmamk_f32 v123, v125, 0xbf27a4f4, v155
	v_fmamk_f32 v124, v127, 0x3f4178ce, v156
	v_fma_f32 v155, 0xbf27a4f4, v125, -v155
	v_fmac_f32_e32 v156, 0xbf4178ce, v127
	v_fmamk_f32 v195, v125, 0xbe11bafb, v157
	v_fmamk_f32 v196, v127, 0xbf7d64f0, v158
	v_fma_f32 v157, 0xbe11bafb, v125, -v157
	v_fmac_f32_e32 v158, 0x3f7d64f0, v127
	v_fmamk_f32 v197, v125, 0x3f575c64, v159
	v_fmamk_f32 v198, v127, 0x3f0a6770, v160
	v_fma_f32 v159, 0x3f575c64, v125, -v159
	v_fmac_f32_e32 v160, 0xbf0a6770, v127
	v_fmamk_f32 v199, v125, 0xbf75a155, v161
	v_fmamk_f32 v200, v127, 0x3e903f40, v162
	v_fma_f32 v161, 0xbf75a155, v125, -v161
	v_fmac_f32_e32 v162, 0xbe903f40, v127
	v_fmamk_f32 v201, v125, 0x3ed4b147, v128
	v_fmamk_f32 v202, v127, 0xbf68dda4, v126
	v_fma_f32 v125, 0x3ed4b147, v125, -v128
	v_fmac_f32_e32 v126, 0x3f68dda4, v127
	v_fmamk_f32 v127, v129, 0xbf75a155, v163
	v_fmamk_f32 v128, v131, 0x3e903f40, v164
	v_fma_f32 v163, 0xbf75a155, v129, -v163
	v_fmac_f32_e32 v164, 0xbe903f40, v131
	v_fmamk_f32 v203, v129, 0x3f575c64, v165
	v_fmamk_f32 v204, v131, 0xbf0a6770, v166
	v_fma_f32 v165, 0x3f575c64, v129, -v165
	v_fmac_f32_e32 v166, 0x3f0a6770, v131
	v_fmamk_f32 v205, v129, 0xbf27a4f4, v167
	v_fmamk_f32 v206, v131, 0x3f4178ce, v168
	v_fma_f32 v167, 0xbf27a4f4, v129, -v167
	v_fmac_f32_e32 v168, 0xbf4178ce, v131
	v_fmamk_f32 v207, v129, 0x3ed4b147, v169
	v_fmamk_f32 v208, v131, 0xbf68dda4, v170
	v_fma_f32 v169, 0x3ed4b147, v129, -v169
	v_fmac_f32_e32 v170, 0x3f68dda4, v131
	v_fmamk_f32 v209, v129, 0xbe11bafb, v132
	v_fmamk_f32 v210, v131, 0x3f7d64f0, v130
	v_fma_f32 v129, 0xbe11bafb, v129, -v132
	v_fmac_f32_e32 v130, 0xbf7d64f0, v131
	v_add_f32_e32 v97, v56, v99
	v_add_f32_e32 v98, v57, v100
	v_add_f32_e32 v99, v56, v106
	v_add_f32_e32 v100, v57, v114
	v_add_f32_e32 v106, v56, v171
	v_add_f32_e32 v114, v57, v172
	v_add_f32_e32 v131, v56, v133
	v_add_f32_e32 v132, v57, v134
	v_add_f32_e32 v133, v56, v173
	v_add_f32_e32 v134, v57, v174
	v_add_f32_e32 v135, v56, v135
	v_add_f32_e32 v136, v57, v136
	v_add_f32_e32 v171, v56, v175
	v_add_f32_e32 v172, v57, v176
	v_add_f32_e32 v137, v56, v137
	v_add_f32_e32 v138, v57, v138
	v_add_f32_e32 v173, v56, v177
	v_add_f32_e32 v174, v57, v178
	v_add_f32_e32 v56, v56, v59
	v_add_f32_e32 v57, v57, v116
	v_add_f32_e32 v59, v60, v62
	v_add_f32_e32 v60, v61, v63
	v_add_f32_e32 v58, v58, v97
	v_add_f32_e32 v61, v115, v98
	v_add_f32_e32 v62, v139, v99
	v_add_f32_e32 v63, v140, v100
	v_add_f32_e32 v97, v179, v106
	v_add_f32_e32 v98, v180, v114
	v_add_f32_e32 v99, v141, v131
	v_add_f32_e32 v100, v142, v132
	v_add_f32_e32 v106, v181, v133
	v_add_f32_e32 v114, v182, v134
	v_add_f32_e32 v115, v143, v135
	v_add_f32_e32 v116, v144, v136
	v_add_f32_e32 v56, v117, v56
	v_add_f32_e32 v57, v118, v57
	v_add_f32_e32 v52, v59, v52
	v_add_f32_e32 v53, v60, v53
	v_add_f32_e32 v131, v183, v171
	v_add_f32_e32 v132, v184, v172
	v_add_f32_e32 v135, v185, v173
	v_add_f32_e32 v136, v186, v174
	v_add_f32_e32 v133, v145, v137
	v_add_f32_e32 v134, v146, v138
	v_add_f32_e32 v58, v119, v58
	v_add_f32_e32 v59, v120, v61
	v_add_f32_e32 v60, v147, v62
	v_add_f32_e32 v61, v148, v63
	v_add_f32_e32 v62, v187, v97
	v_add_f32_e32 v63, v188, v98
	v_add_f32_e32 v97, v149, v99
	v_add_f32_e32 v98, v150, v100
	v_add_f32_e32 v99, v189, v106
	v_add_f32_e32 v100, v190, v114
	v_add_f32_e32 v106, v151, v115
	v_add_f32_e32 v114, v152, v116
	v_add_f32_e32 v56, v121, v56
	v_add_f32_e32 v57, v122, v57
	v_add_f32_e32 v52, v52, v54
	v_add_f32_e32 v53, v53, v55
	v_add_f32_e32 v115, v191, v131
	v_add_f32_e32 v116, v192, v132
	v_add_f32_e32 v119, v193, v135
	v_add_f32_e32 v120, v194, v136
	v_add_f32_e32 v117, v153, v133
	v_add_f32_e32 v118, v154, v134
	v_add_f32_e32 v54, v123, v58
	v_add_f32_e32 v55, v124, v59
	v_add_f32_e32 v58, v155, v60
	v_add_f32_e32 v59, v156, v61
	v_add_f32_e32 v60, v195, v62
	v_add_f32_e32 v61, v196, v63
	v_add_f32_e32 v121, v197, v99
	v_add_f32_e32 v122, v198, v100
	v_add_f32_e32 v106, v159, v106
	v_add_f32_e32 v114, v160, v114
	v_add_f32_e32 v123, v125, v56
	v_add_f32_e32 v124, v126, v57
	v_add_f32_e32 v125, v52, v48
	v_add_f32_e32 v126, v53, v49
	v_add_f32_e32 v62, v157, v97
	v_add_f32_e32 v63, v158, v98
	v_add_f32_e32 v115, v199, v115
	v_add_f32_e32 v116, v200, v116
	v_add_f32_e32 v119, v201, v119
	v_add_f32_e32 v120, v202, v120
	v_add_f32_e32 v117, v161, v117
	v_add_f32_e32 v118, v162, v118
	v_add_f32_e32 v48, v127, v54
	v_add_f32_e32 v49, v128, v55
	v_add_f32_e32 v52, v203, v60
	v_add_f32_e32 v53, v204, v61
	v_add_f32_e32 v54, v205, v121
	v_add_f32_e32 v55, v206, v122
	v_add_f32_e32 v56, v167, v106
	v_add_f32_e32 v57, v168, v114
	v_add_f32_e32 v106, v125, v50
	v_add_f32_e32 v114, v126, v51
	v_add_f32_e32 v99, v163, v58
	v_add_f32_e32 v100, v164, v59
	v_add_f32_e32 v97, v165, v62
	v_add_f32_e32 v98, v166, v63
	v_add_f32_e32 v58, v207, v115
	v_add_f32_e32 v59, v208, v116
	v_add_f32_e32 v62, v209, v119
	v_add_f32_e32 v63, v210, v120
	v_add_f32_e32 v60, v169, v117
	v_add_f32_e32 v61, v170, v118
	v_add_f32_e32 v50, v129, v123
	v_add_f32_e32 v51, v130, v124
	ds_write2_b64 v107, v[52:53], v[54:55] offset0:2 offset1:3
	v_add_f32_e32 v52, v106, v87
	v_add_f32_e32 v53, v114, v88
	ds_write2_b64 v107, v[58:59], v[62:63] offset0:4 offset1:5
	ds_write2_b64 v107, v[50:51], v[60:61] offset0:6 offset1:7
	;; [unrolled: 1-line block ×3, first 2 shown]
	ds_write_b64 v107, v[99:100] offset:80
	ds_write2_b64 v107, v[52:53], v[48:49] offset1:1
	s_waitcnt lgkmcnt(0)
	s_barrier
	buffer_gl0_inv
	ds_read2_b64 v[52:55], v103 offset1:132
	ds_read2_b64 v[48:51], v102 offset0:8 offset1:228
	ds_read2_b64 v[60:63], v105 offset0:72 offset1:204
	;; [unrolled: 1-line block ×3, first 2 shown]
	ds_read_b64 v[87:88], v103 offset:9856
	s_and_saveexec_b32 s1, vcc_lo
	s_cbranch_execz .LBB0_11
; %bb.10:
	ds_read_b64 v[97:98], v103 offset:3168
	ds_read_b64 v[99:100], v103 offset:7040
	;; [unrolled: 1-line block ×3, first 2 shown]
.LBB0_11:
	s_or_b32 exec_lo, exec_lo, s1
	s_waitcnt lgkmcnt(3)
	v_mul_f32_e32 v101, v25, v51
	v_mul_f32_e32 v25, v25, v50
	s_waitcnt lgkmcnt(2)
	v_mul_f32_e32 v102, v27, v61
	v_mul_f32_e32 v27, v27, v60
	s_waitcnt lgkmcnt(0)
	v_fmac_f32_e32 v101, v24, v50
	v_fma_f32 v25, v24, v51, -v25
	v_fmac_f32_e32 v102, v26, v60
	v_mul_f32_e32 v51, v17, v57
	v_mul_f32_e32 v17, v17, v56
	;; [unrolled: 1-line block ×4, first 2 shown]
	v_fma_f32 v27, v26, v61, -v27
	v_fmac_f32_e32 v51, v16, v56
	v_mul_f32_e32 v61, v5, v59
	v_fma_f32 v16, v16, v57, -v17
	v_fmac_f32_e32 v60, v18, v62
	v_fma_f32 v17, v18, v63, -v19
	v_mul_f32_e32 v18, v5, v58
	v_mul_f32_e32 v57, v7, v88
	;; [unrolled: 1-line block ×5, first 2 shown]
	v_fmac_f32_e32 v61, v4, v58
	v_fma_f32 v59, v4, v59, -v18
	v_fmac_f32_e32 v57, v6, v87
	v_fma_f32 v62, v6, v88, -v7
	v_fmac_f32_e32 v5, v0, v99
	v_add_f32_e32 v6, v101, v102
	v_fma_f32 v4, v0, v100, -v1
	v_mul_f32_e32 v0, v3, v96
	v_mul_f32_e32 v1, v3, v95
	v_add_f32_e32 v3, v52, v101
	v_fma_f32 v18, -0.5, v6, v52
	v_sub_f32_e32 v6, v25, v27
	v_fmac_f32_e32 v0, v2, v95
	v_fma_f32 v1, v2, v96, -v1
	v_add_f32_e32 v24, v3, v102
	v_add_f32_e32 v2, v25, v27
	;; [unrolled: 1-line block ×3, first 2 shown]
	v_fmamk_f32 v26, v6, 0xbf5db3d7, v18
	v_fmac_f32_e32 v18, 0x3f5db3d7, v6
	v_add_f32_e32 v6, v51, v60
	v_fma_f32 v19, -0.5, v2, v53
	v_sub_f32_e32 v2, v101, v102
	v_add_f32_e32 v25, v3, v27
	v_add_f32_e32 v3, v54, v51
	v_fma_f32 v54, -0.5, v6, v54
	v_sub_f32_e32 v6, v16, v17
	v_fmamk_f32 v27, v2, 0x3f5db3d7, v19
	v_fmac_f32_e32 v19, 0xbf5db3d7, v2
	v_add_f32_e32 v50, v3, v60
	v_add_f32_e32 v2, v16, v17
	;; [unrolled: 1-line block ×3, first 2 shown]
	v_fmamk_f32 v52, v6, 0xbf5db3d7, v54
	v_fmac_f32_e32 v54, 0x3f5db3d7, v6
	v_add_f32_e32 v6, v55, v16
	v_fmac_f32_e32 v55, -0.5, v2
	v_sub_f32_e32 v2, v51, v60
	v_add_f32_e32 v7, v48, v61
	v_fma_f32 v48, -0.5, v3, v48
	v_sub_f32_e32 v3, v59, v62
	v_add_f32_e32 v51, v6, v17
	v_fmamk_f32 v53, v2, 0x3f5db3d7, v55
	v_fmac_f32_e32 v55, 0xbf5db3d7, v2
	v_add_f32_e32 v56, v7, v57
	v_fmamk_f32 v58, v3, 0xbf5db3d7, v48
	v_add_f32_e32 v2, v59, v62
	v_fmac_f32_e32 v48, 0x3f5db3d7, v3
	v_add_f32_e32 v3, v0, v5
	v_add_f32_e32 v7, v1, v4
	;; [unrolled: 1-line block ×3, first 2 shown]
	v_fmac_f32_e32 v49, -0.5, v2
	v_sub_f32_e32 v17, v61, v57
	v_fma_f32 v2, -0.5, v3, v97
	v_sub_f32_e32 v6, v4, v1
	v_fma_f32 v3, -0.5, v7, v98
	v_sub_f32_e32 v7, v5, v0
	v_add_f32_e32 v57, v16, v62
	v_fmamk_f32 v59, v17, 0x3f5db3d7, v49
	v_fmac_f32_e32 v49, 0xbf5db3d7, v17
	v_fmamk_f32 v16, v6, 0x3f5db3d7, v2
	v_fmamk_f32 v17, v7, 0xbf5db3d7, v3
	s_barrier
	buffer_gl0_inv
	ds_write2_b64 v113, v[24:25], v[26:27] offset1:11
	ds_write_b64 v113, v[18:19] offset:176
	ds_write2_b64 v112, v[50:51], v[52:53] offset1:11
	ds_write_b64 v112, v[54:55] offset:176
	;; [unrolled: 2-line block ×3, first 2 shown]
	s_and_saveexec_b32 s1, vcc_lo
	s_cbranch_execz .LBB0_13
; %bb.12:
	v_mul_f32_e32 v6, 0x3f5db3d7, v6
	v_mul_f32_e32 v7, 0x3f5db3d7, v7
	v_add_f32_e32 v4, v4, v98
	v_add_f32_e32 v5, v97, v5
	v_mad_u16 v18, v108, 33, v109
	v_mov_b32_e32 v19, 3
	v_add_f32_e32 v3, v7, v3
	v_sub_f32_e32 v2, v2, v6
	v_add_f32_e32 v1, v1, v4
	v_add_f32_e32 v0, v0, v5
	v_lshlrev_b32_sdwa v4, v19, v18 dst_sel:DWORD dst_unused:UNUSED_PAD src0_sel:DWORD src1_sel:WORD_0
	ds_write2_b64 v4, v[0:1], v[2:3] offset1:11
	ds_write_b64 v4, v[16:17] offset:176
.LBB0_13:
	s_or_b32 exec_lo, exec_lo, s1
	s_waitcnt lgkmcnt(0)
	s_barrier
	buffer_gl0_inv
	ds_read2_b64 v[0:3], v103 offset1:132
	v_add_nc_u32_e32 v4, 0x800, v103
	v_add_nc_u32_e32 v5, 0x1000, v103
	ds_read2_b64 v[48:51], v4 offset0:8 offset1:140
	ds_read2_b64 v[52:55], v5 offset0:16 offset1:148
	v_add_nc_u32_e32 v5, 0x1800, v103
	v_add_nc_u32_e32 v24, 0x2000, v103
	ds_read2_b64 v[56:59], v5 offset0:24 offset1:156
	ds_read_b64 v[5:6], v103 offset:10560
	ds_read2_b64 v[60:63], v24 offset0:32 offset1:164
	s_waitcnt lgkmcnt(0)
	s_barrier
	buffer_gl0_inv
	v_mul_f32_e32 v7, v33, v3
	v_mul_f32_e32 v18, v33, v2
	v_fmac_f32_e32 v7, v32, v2
	v_fma_f32 v2, v32, v3, -v18
	v_mul_f32_e32 v18, v35, v49
	v_mul_f32_e32 v3, v35, v48
	;; [unrolled: 1-line block ×8, first 2 shown]
	v_fmac_f32_e32 v18, v34, v48
	v_fma_f32 v31, v34, v49, -v3
	v_fmac_f32_e32 v26, v30, v52
	v_fma_f32 v27, v30, v53, -v27
	v_add_f32_e32 v3, v0, v7
	v_add_f32_e32 v30, v1, v2
	v_fmac_f32_e32 v19, v28, v50
	v_fma_f32 v25, v28, v51, -v25
	v_mul_f32_e32 v28, v15, v57
	v_fmac_f32_e32 v29, v12, v54
	v_fma_f32 v12, v12, v55, -v13
	v_mul_f32_e32 v13, v15, v56
	v_add_f32_e32 v3, v3, v18
	v_add_f32_e32 v15, v30, v31
	v_fmac_f32_e32 v28, v14, v56
	v_mul_f32_e32 v30, v9, v59
	v_fma_f32 v13, v14, v57, -v13
	v_add_f32_e32 v3, v3, v19
	v_add_f32_e32 v14, v15, v25
	v_mul_f32_e32 v9, v9, v58
	v_fmac_f32_e32 v30, v8, v58
	v_mul_f32_e32 v15, v21, v63
	v_add_f32_e32 v3, v3, v26
	v_add_f32_e32 v14, v14, v27
	v_fma_f32 v8, v8, v59, -v9
	v_mul_f32_e32 v9, v11, v61
	v_mul_f32_e32 v11, v11, v60
	v_add_f32_e32 v3, v3, v29
	v_add_f32_e32 v14, v14, v12
	v_mul_f32_e32 v21, v21, v62
	v_fmac_f32_e32 v9, v10, v60
	v_fma_f32 v10, v10, v61, -v11
	v_mul_f32_e32 v11, v23, v5
	v_add_f32_e32 v3, v3, v28
	v_add_f32_e32 v14, v14, v13
	v_mul_f32_e32 v23, v23, v6
	v_fmac_f32_e32 v15, v20, v62
	v_fma_f32 v6, v22, v6, -v11
	v_add_f32_e32 v3, v3, v30
	v_add_f32_e32 v11, v14, v8
	v_fmac_f32_e32 v23, v22, v5
	v_fma_f32 v5, v20, v63, -v21
	v_sub_f32_e32 v14, v2, v6
	v_add_f32_e32 v3, v3, v9
	v_add_f32_e32 v11, v11, v10
	;; [unrolled: 1-line block ×4, first 2 shown]
	v_mul_f32_e32 v22, 0xbf0a6770, v14
	v_add_f32_e32 v2, v3, v15
	v_add_f32_e32 v3, v11, v5
	v_sub_f32_e32 v7, v7, v23
	v_mul_f32_e32 v11, 0x3f575c64, v21
	v_mul_f32_e32 v34, 0x3ed4b147, v21
	;; [unrolled: 1-line block ×3, first 2 shown]
	v_add_f32_e32 v3, v3, v6
	v_mul_f32_e32 v6, 0xbf68dda4, v14
	v_mul_f32_e32 v49, 0xbe11bafb, v21
	;; [unrolled: 1-line block ×6, first 2 shown]
	v_sub_f32_e32 v57, v31, v5
	v_fmamk_f32 v32, v20, 0x3f575c64, v22
	v_fma_f32 v22, 0x3f575c64, v20, -v22
	v_fmamk_f32 v33, v20, 0x3ed4b147, v6
	v_fma_f32 v6, 0x3ed4b147, v20, -v6
	;; [unrolled: 2-line block ×4, first 2 shown]
	v_fmamk_f32 v56, v20, 0xbf75a155, v14
	v_fmamk_f32 v58, v7, 0x3e903f40, v21
	v_fma_f32 v14, 0xbf75a155, v20, -v14
	v_add_f32_e32 v5, v31, v5
	v_add_f32_e32 v20, v18, v15
	v_mul_f32_e32 v31, 0xbf68dda4, v57
	v_add_f32_e32 v2, v2, v23
	v_fmamk_f32 v23, v7, 0x3f0a6770, v11
	v_add_f32_e32 v32, v0, v32
	v_fmac_f32_e32 v11, 0xbf0a6770, v7
	v_fmamk_f32 v48, v7, 0x3f68dda4, v34
	v_fmac_f32_e32 v34, 0xbf68dda4, v7
	v_fmamk_f32 v51, v7, 0x3f7d64f0, v49
	;; [unrolled: 2-line block ×3, first 2 shown]
	v_fmac_f32_e32 v53, 0xbf4178ce, v7
	v_fmac_f32_e32 v21, 0xbe903f40, v7
	v_sub_f32_e32 v7, v18, v15
	v_mul_f32_e32 v15, 0x3ed4b147, v5
	v_add_f32_e32 v18, v1, v58
	v_fmamk_f32 v58, v20, 0x3ed4b147, v31
	v_add_f32_e32 v23, v1, v23
	v_add_f32_e32 v22, v0, v22
	;; [unrolled: 1-line block ×18, first 2 shown]
	v_fmamk_f32 v14, v7, 0x3f68dda4, v15
	v_mul_f32_e32 v21, 0xbf4178ce, v57
	v_add_f32_e32 v32, v58, v32
	v_fma_f32 v31, 0x3ed4b147, v20, -v31
	v_fmac_f32_e32 v15, 0xbf68dda4, v7
	v_mul_f32_e32 v58, 0xbf27a4f4, v5
	v_add_f32_e32 v14, v14, v23
	v_fmamk_f32 v23, v20, 0xbf27a4f4, v21
	v_add_f32_e32 v22, v31, v22
	v_add_f32_e32 v11, v15, v11
	v_mul_f32_e32 v15, 0x3e903f40, v57
	v_fmamk_f32 v31, v7, 0x3f4178ce, v58
	v_fma_f32 v21, 0xbf27a4f4, v20, -v21
	v_fmac_f32_e32 v58, 0xbf4178ce, v7
	v_mul_f32_e32 v59, 0xbf75a155, v5
	v_add_f32_e32 v23, v23, v33
	v_fmamk_f32 v33, v20, 0xbf75a155, v15
	v_add_f32_e32 v31, v31, v48
	v_add_f32_e32 v6, v21, v6
	;; [unrolled: 1-line block ×3, first 2 shown]
	v_fmamk_f32 v34, v7, 0xbe903f40, v59
	v_mul_f32_e32 v48, 0x3f7d64f0, v57
	v_add_f32_e32 v33, v33, v50
	v_fma_f32 v15, 0xbf75a155, v20, -v15
	v_mul_f32_e32 v50, 0xbe11bafb, v5
	v_add_f32_e32 v34, v34, v51
	v_fmamk_f32 v51, v20, 0xbe11bafb, v48
	v_mul_f32_e32 v57, 0x3f0a6770, v57
	v_fma_f32 v48, 0xbe11bafb, v20, -v48
	v_add_f32_e32 v15, v15, v35
	v_fmamk_f32 v35, v7, 0xbf7d64f0, v50
	v_add_f32_e32 v51, v51, v54
	v_fmac_f32_e32 v50, 0x3f7d64f0, v7
	v_fmamk_f32 v54, v20, 0x3f575c64, v57
	v_add_f32_e32 v48, v48, v52
	v_sub_f32_e32 v52, v25, v10
	v_add_f32_e32 v35, v35, v55
	v_mul_f32_e32 v5, 0x3f575c64, v5
	v_add_f32_e32 v50, v50, v53
	v_add_f32_e32 v53, v54, v56
	;; [unrolled: 1-line block ×3, first 2 shown]
	v_mul_f32_e32 v56, 0xbf7d64f0, v52
	v_add_f32_e32 v10, v25, v10
	v_fmac_f32_e32 v59, 0x3e903f40, v7
	v_fmamk_f32 v54, v7, 0xbf0a6770, v5
	v_fma_f32 v20, 0x3f575c64, v20, -v57
	v_fmac_f32_e32 v5, 0x3f0a6770, v7
	v_sub_f32_e32 v7, v19, v9
	v_fmamk_f32 v9, v55, 0xbe11bafb, v56
	v_mul_f32_e32 v19, 0xbe11bafb, v10
	v_add_f32_e32 v0, v20, v0
	v_add_f32_e32 v1, v5, v1
	v_mul_f32_e32 v20, 0x3e903f40, v52
	v_add_f32_e32 v5, v9, v32
	v_fmamk_f32 v9, v7, 0x3f7d64f0, v19
	v_fma_f32 v25, 0xbe11bafb, v55, -v56
	v_fmac_f32_e32 v19, 0xbf7d64f0, v7
	v_mul_f32_e32 v32, 0xbf75a155, v10
	v_add_f32_e32 v49, v59, v49
	v_add_f32_e32 v9, v9, v14
	v_fmamk_f32 v14, v55, 0xbf75a155, v20
	v_add_f32_e32 v22, v25, v22
	v_add_f32_e32 v11, v19, v11
	v_fmamk_f32 v19, v7, 0xbe903f40, v32
	v_mul_f32_e32 v25, 0x3f68dda4, v52
	v_fma_f32 v20, 0xbf75a155, v55, -v20
	v_fmac_f32_e32 v32, 0x3e903f40, v7
	v_add_f32_e32 v14, v14, v23
	v_add_f32_e32 v19, v19, v31
	v_fmamk_f32 v23, v55, 0x3ed4b147, v25
	v_mul_f32_e32 v31, 0x3ed4b147, v10
	v_add_f32_e32 v6, v20, v6
	v_add_f32_e32 v20, v32, v21
	v_mul_f32_e32 v21, 0xbf0a6770, v52
	v_add_f32_e32 v18, v54, v18
	v_add_f32_e32 v23, v23, v33
	v_fmamk_f32 v32, v7, 0xbf68dda4, v31
	v_fma_f32 v25, 0x3ed4b147, v55, -v25
	v_fmac_f32_e32 v31, 0x3f68dda4, v7
	v_fmamk_f32 v33, v55, 0x3f575c64, v21
	v_mul_f32_e32 v54, 0x3f575c64, v10
	v_mul_f32_e32 v10, 0xbf27a4f4, v10
	v_add_f32_e32 v15, v25, v15
	v_add_f32_e32 v25, v31, v49
	;; [unrolled: 1-line block ×3, first 2 shown]
	v_fmamk_f32 v33, v7, 0x3f0a6770, v54
	v_fma_f32 v21, 0x3f575c64, v55, -v21
	v_fmac_f32_e32 v54, 0xbf0a6770, v7
	v_add_f32_e32 v32, v32, v34
	v_mul_f32_e32 v34, 0xbf4178ce, v52
	v_fmamk_f32 v49, v7, 0x3f4178ce, v10
	v_add_f32_e32 v21, v21, v48
	v_add_f32_e32 v48, v54, v50
	v_sub_f32_e32 v50, v27, v8
	v_add_f32_e32 v8, v27, v8
	v_add_f32_e32 v33, v33, v35
	v_fmamk_f32 v35, v55, 0xbf27a4f4, v34
	v_add_f32_e32 v18, v49, v18
	v_add_f32_e32 v49, v26, v30
	v_mul_f32_e32 v27, 0xbf4178ce, v50
	v_fma_f32 v34, 0xbf27a4f4, v55, -v34
	v_fmac_f32_e32 v10, 0xbf4178ce, v7
	v_sub_f32_e32 v7, v26, v30
	v_mul_f32_e32 v26, 0xbf27a4f4, v8
	v_fmamk_f32 v30, v49, 0xbf27a4f4, v27
	v_add_f32_e32 v0, v34, v0
	v_add_f32_e32 v1, v10, v1
	v_mul_f32_e32 v10, 0x3f7d64f0, v50
	v_fmamk_f32 v34, v7, 0x3f4178ce, v26
	v_add_f32_e32 v5, v30, v5
	v_fma_f32 v27, 0xbf27a4f4, v49, -v27
	v_fmac_f32_e32 v26, 0xbf4178ce, v7
	v_fmamk_f32 v30, v49, 0xbe11bafb, v10
	v_add_f32_e32 v9, v34, v9
	v_mul_f32_e32 v34, 0xbe11bafb, v8
	v_add_f32_e32 v22, v27, v22
	v_add_f32_e32 v11, v26, v11
	;; [unrolled: 1-line block ×3, first 2 shown]
	v_mul_f32_e32 v26, 0xbf0a6770, v50
	v_fmamk_f32 v27, v7, 0xbf7d64f0, v34
	v_fma_f32 v10, 0xbe11bafb, v49, -v10
	v_fmac_f32_e32 v34, 0x3f7d64f0, v7
	v_mul_f32_e32 v30, 0x3f575c64, v8
	v_fmamk_f32 v51, v49, 0x3f575c64, v26
	v_add_f32_e32 v27, v27, v19
	v_add_f32_e32 v10, v10, v6
	;; [unrolled: 1-line block ×3, first 2 shown]
	v_fmamk_f32 v6, v7, 0x3f0a6770, v30
	v_mul_f32_e32 v19, 0xbe903f40, v50
	v_fma_f32 v20, 0x3f575c64, v49, -v26
	v_add_f32_e32 v35, v35, v53
	v_fmac_f32_e32 v30, 0xbf0a6770, v7
	v_add_f32_e32 v26, v6, v32
	v_fmamk_f32 v32, v49, 0xbf75a155, v19
	v_add_f32_e32 v15, v20, v15
	v_mul_f32_e32 v20, 0x3f68dda4, v50
	v_mul_f32_e32 v6, 0xbf75a155, v8
	v_add_f32_e32 v25, v30, v25
	v_add_f32_e32 v31, v32, v31
	v_fma_f32 v19, 0xbf75a155, v49, -v19
	v_fmamk_f32 v32, v49, 0x3ed4b147, v20
	v_fmamk_f32 v30, v7, 0x3e903f40, v6
	v_fmac_f32_e32 v6, 0xbe903f40, v7
	v_mul_f32_e32 v8, 0x3ed4b147, v8
	v_add_f32_e32 v23, v51, v23
	v_add_f32_e32 v32, v32, v35
	v_sub_f32_e32 v35, v12, v13
	v_add_f32_e32 v12, v12, v13
	v_add_f32_e32 v30, v30, v33
	;; [unrolled: 1-line block ×4, first 2 shown]
	v_fmamk_f32 v6, v7, 0xbf68dda4, v8
	v_fma_f32 v19, 0x3ed4b147, v49, -v20
	v_add_f32_e32 v13, v29, v28
	v_mul_f32_e32 v20, 0xbe903f40, v35
	v_fmac_f32_e32 v8, 0x3f68dda4, v7
	v_sub_f32_e32 v28, v29, v28
	v_mul_f32_e32 v7, 0xbf75a155, v12
	v_add_f32_e32 v29, v6, v18
	v_fmamk_f32 v6, v13, 0xbf75a155, v20
	v_add_f32_e32 v50, v8, v1
	v_mul_f32_e32 v8, 0x3f0a6770, v35
	v_fmamk_f32 v1, v28, 0x3e903f40, v7
	v_fmac_f32_e32 v7, 0xbe903f40, v28
	v_add_f32_e32 v49, v19, v0
	v_add_f32_e32 v0, v6, v5
	v_fma_f32 v5, 0xbf75a155, v13, -v20
	v_add_f32_e32 v1, v1, v9
	v_fmamk_f32 v6, v13, 0x3f575c64, v8
	v_mul_f32_e32 v9, 0x3f575c64, v12
	v_add_f32_e32 v19, v7, v11
	v_mul_f32_e32 v11, 0xbf4178ce, v35
	v_add_f32_e32 v18, v5, v22
	v_add_f32_e32 v5, v6, v14
	v_fmamk_f32 v6, v28, 0xbf0a6770, v9
	v_fma_f32 v7, 0x3f575c64, v13, -v8
	v_fmac_f32_e32 v9, 0x3f0a6770, v28
	v_fmamk_f32 v8, v13, 0xbf27a4f4, v11
	v_mul_f32_e32 v14, 0xbf27a4f4, v12
	v_add_f32_e32 v6, v6, v27
	v_add_f32_e32 v20, v7, v10
	;; [unrolled: 1-line block ×4, first 2 shown]
	v_fmamk_f32 v8, v28, 0x3f4178ce, v14
	v_mul_f32_e32 v9, 0x3f68dda4, v35
	v_fma_f32 v10, 0xbf27a4f4, v13, -v11
	v_fmac_f32_e32 v14, 0xbf4178ce, v28
	v_mul_f32_e32 v27, 0x3ed4b147, v12
	v_add_f32_e32 v8, v8, v26
	v_fmamk_f32 v11, v13, 0x3ed4b147, v9
	v_add_f32_e32 v22, v10, v15
	v_add_f32_e32 v23, v14, v25
	v_fma_f32 v14, 0x3ed4b147, v13, -v9
	v_mul_f32_e32 v15, 0xbf7d64f0, v35
	v_mul_f32_e32 v26, 0xbe11bafb, v12
	v_fmamk_f32 v10, v28, 0xbf68dda4, v27
	v_add_f32_e32 v9, v11, v31
	v_add_f32_e32 v11, v14, v33
	v_fmamk_f32 v14, v13, 0xbe11bafb, v15
	v_fmamk_f32 v25, v28, 0x3f7d64f0, v26
	v_fmac_f32_e32 v27, 0x3f68dda4, v28
	v_fma_f32 v15, 0xbe11bafb, v13, -v15
	v_fmac_f32_e32 v26, 0xbf7d64f0, v28
	v_add_f32_e32 v10, v10, v30
	v_add_f32_e32 v13, v14, v32
	;; [unrolled: 1-line block ×6, first 2 shown]
	v_add_nc_u32_e32 v15, 0x800, v110
	ds_write2_b64 v110, v[2:3], v[0:1] offset1:33
	ds_write2_b64 v110, v[5:6], v[7:8] offset0:66 offset1:99
	ds_write2_b64 v110, v[9:10], v[13:14] offset0:132 offset1:165
	;; [unrolled: 1-line block ×4, first 2 shown]
	ds_write_b64 v110, v[18:19] offset:2640
	v_add_nc_u32_e32 v5, 0x1400, v103
	s_waitcnt lgkmcnt(0)
	s_barrier
	buffer_gl0_inv
	ds_read2_b64 v[0:3], v103 offset1:132
	ds_read2_b64 v[12:15], v4 offset0:107 offset1:239
	ds_read2_b64 v[4:7], v5 offset0:86 offset1:218
	;; [unrolled: 1-line block ×3, first 2 shown]
	s_and_saveexec_b32 s1, s0
	s_cbranch_execz .LBB0_15
; %bb.14:
	ds_read_b64 v[22:23], v103 offset:2112
	ds_read_b64 v[20:21], v103 offset:5016
	;; [unrolled: 1-line block ×4, first 2 shown]
.LBB0_15:
	s_or_b32 exec_lo, exec_lo, s1
	s_waitcnt lgkmcnt(1)
	v_mul_f32_e32 v26, v43, v5
	v_mul_f32_e32 v24, v41, v13
	;; [unrolled: 1-line block ×4, first 2 shown]
	v_fmac_f32_e32 v26, v42, v4
	s_waitcnt lgkmcnt(0)
	v_mul_f32_e32 v4, v92, v9
	v_fmac_f32_e32 v24, v40, v12
	v_fma_f32 v12, v40, v13, -v25
	v_fma_f32 v5, v42, v5, -v27
	v_mul_f32_e32 v13, v92, v8
	v_mul_f32_e32 v25, v45, v15
	;; [unrolled: 1-line block ×3, first 2 shown]
	v_fmac_f32_e32 v4, v91, v8
	v_mul_f32_e32 v8, v47, v7
	v_fma_f32 v9, v91, v9, -v13
	v_fmac_f32_e32 v25, v44, v14
	v_fma_f32 v13, v44, v15, -v27
	v_sub_f32_e32 v14, v0, v26
	v_sub_f32_e32 v15, v24, v4
	v_fmac_f32_e32 v8, v46, v6
	v_mul_f32_e32 v4, v47, v6
	v_sub_f32_e32 v26, v1, v5
	v_fma_f32 v5, v0, 2.0, -v14
	v_sub_f32_e32 v6, v12, v9
	v_fma_f32 v0, v24, 2.0, -v15
	v_mul_f32_e32 v9, v94, v11
	v_mul_f32_e32 v24, v94, v10
	v_fma_f32 v7, v46, v7, -v4
	v_fma_f32 v27, v1, 2.0, -v26
	v_fma_f32 v1, v12, 2.0, -v6
	v_fmac_f32_e32 v9, v93, v10
	v_fma_f32 v10, v93, v11, -v24
	v_sub_f32_e32 v24, v2, v8
	v_sub_f32_e32 v28, v3, v7
	v_add_f32_e32 v6, v14, v6
	v_sub_f32_e32 v11, v25, v9
	v_sub_f32_e32 v10, v13, v10
	v_fma_f32 v12, v2, 2.0, -v24
	v_fma_f32 v29, v3, 2.0, -v28
	v_sub_f32_e32 v7, v26, v15
	v_fma_f32 v3, v25, 2.0, -v11
	v_fma_f32 v9, v13, 2.0, -v10
	v_sub_f32_e32 v0, v5, v0
	v_sub_f32_e32 v1, v27, v1
	v_add_f32_e32 v10, v24, v10
	v_sub_f32_e32 v8, v12, v3
	v_sub_f32_e32 v9, v29, v9
	v_sub_f32_e32 v11, v28, v11
	v_fma_f32 v2, v14, 2.0, -v6
	v_fma_f32 v3, v26, 2.0, -v7
	;; [unrolled: 1-line block ×8, first 2 shown]
	ds_write_b64 v103, v[2:3] offset:2904
	ds_write_b64 v103, v[0:1] offset:5808
	;; [unrolled: 1-line block ×3, first 2 shown]
	ds_write2_b64 v103, v[4:5], v[12:13] offset1:132
	ds_write_b64 v103, v[14:15] offset:3960
	ds_write_b64 v103, v[8:9] offset:6864
	;; [unrolled: 1-line block ×3, first 2 shown]
	s_and_saveexec_b32 s1, s0
	s_cbranch_execz .LBB0_17
; %bb.16:
	v_mul_f32_e32 v0, v39, v18
	v_mul_f32_e32 v1, v37, v21
	;; [unrolled: 1-line block ×6, first 2 shown]
	v_fma_f32 v0, v38, v19, -v0
	v_fmac_f32_e32 v1, v36, v20
	v_fma_f32 v3, v36, v21, -v3
	v_fma_f32 v4, v89, v17, -v4
	v_fmac_f32_e32 v2, v38, v18
	v_fmac_f32_e32 v5, v89, v16
	v_sub_f32_e32 v6, v23, v0
	v_sub_f32_e32 v0, v3, v4
	;; [unrolled: 1-line block ×4, first 2 shown]
	v_fma_f32 v7, v23, 2.0, -v6
	v_fma_f32 v3, v3, 2.0, -v0
	v_fma_f32 v8, v22, 2.0, -v4
	v_fma_f32 v5, v1, 2.0, -v2
	v_sub_f32_e32 v1, v6, v2
	v_add_f32_e32 v0, v4, v0
	v_sub_f32_e32 v3, v7, v3
	v_sub_f32_e32 v2, v8, v5
	v_fma_f32 v5, v6, 2.0, -v1
	v_fma_f32 v4, v4, 2.0, -v0
	v_fma_f32 v7, v7, 2.0, -v3
	v_fma_f32 v6, v8, 2.0, -v2
	ds_write_b64 v103, v[4:5] offset:5016
	ds_write_b64 v103, v[2:3] offset:7920
	;; [unrolled: 1-line block ×4, first 2 shown]
.LBB0_17:
	s_or_b32 exec_lo, exec_lo, s1
	s_waitcnt lgkmcnt(0)
	s_barrier
	buffer_gl0_inv
	ds_read2_b64 v[0:3], v103 offset1:132
	v_mad_u64_u32 v[20:21], null, s10, v64, 0
	v_mad_u64_u32 v[22:23], null, s8, v104, 0
	v_add_nc_u32_e32 v9, 0x1000, v103
	v_add_nc_u32_e32 v4, 0x800, v103
	s_mov_b32 s0, 0x3a88d0c0
	s_mov_b32 s1, 0x3f469147
	v_mov_b32_e32 v8, v21
	v_add_nc_u32_e32 v12, 0x1800, v103
	ds_read2_b64 v[4:7], v4 offset0:8 offset1:140
	v_add_nc_u32_e32 v16, 0x2000, v103
	s_mul_i32 s3, s9, 0x420
	s_mul_hi_u32 s6, s8, 0x420
	s_mul_i32 s2, s8, 0x420
	s_add_i32 s6, s6, s3
	s_waitcnt lgkmcnt(1)
	v_mul_f32_e32 v10, v66, v1
	v_mul_f32_e32 v11, v66, v0
	v_mul_f32_e32 v28, v68, v2
	v_fmac_f32_e32 v10, v65, v0
	v_fma_f32 v1, v65, v1, -v11
	v_mov_b32_e32 v0, v23
	v_mad_u64_u32 v[23:24], null, s11, v64, v[8:9]
	v_cvt_f64_f32_e32 v[24:25], v10
	v_cvt_f64_f32_e32 v[26:27], v1
	v_mad_u64_u32 v[0:1], null, s9, v104, v[0:1]
	v_mul_f32_e32 v1, v68, v3
	s_waitcnt lgkmcnt(0)
	v_mul_f32_e32 v29, v86, v5
	v_mul_f32_e32 v30, v86, v4
	ds_read2_b64 v[8:11], v9 offset0:16 offset1:148
	v_mov_b32_e32 v21, v23
	v_fmac_f32_e32 v1, v67, v2
	v_fma_f32 v2, v67, v3, -v28
	v_fmac_f32_e32 v29, v85, v4
	v_fma_f32 v28, v85, v5, -v30
	v_mov_b32_e32 v23, v0
	v_cvt_f64_f32_e32 v[0:1], v1
	v_cvt_f64_f32_e32 v[2:3], v2
	;; [unrolled: 1-line block ×4, first 2 shown]
	v_lshlrev_b64 v[20:21], 3, v[20:21]
	v_mul_f32_e32 v31, v82, v6
	v_lshlrev_b64 v[22:23], 3, v[22:23]
	v_mul_f32_e32 v30, v82, v7
	v_mul_f64 v[24:25], v[24:25], s[0:1]
	v_mul_f64 v[26:27], v[26:27], s[0:1]
	v_fma_f32 v31, v81, v7, -v31
	v_add_co_u32 v35, vcc_lo, s4, v20
	s_waitcnt lgkmcnt(0)
	v_mul_f32_e32 v32, v84, v9
	v_mul_f32_e32 v33, v84, v8
	v_add_co_ci_u32_e32 v36, vcc_lo, s5, v21, vcc_lo
	ds_read2_b64 v[12:15], v12 offset0:24 offset1:156
	ds_read2_b64 v[16:19], v16 offset0:32 offset1:164
	v_fmac_f32_e32 v32, v83, v8
	v_fma_f32 v33, v83, v9, -v33
	v_fmac_f32_e32 v30, v81, v6
	v_cvt_f64_f32_e32 v[8:9], v31
	v_mul_f64 v[0:1], v[0:1], s[0:1]
	v_mul_f64 v[2:3], v[2:3], s[0:1]
	;; [unrolled: 1-line block ×4, first 2 shown]
	v_add_co_u32 v22, vcc_lo, v35, v22
	v_cvt_f64_f32_e32 v[28:29], v33
	v_add_co_ci_u32_e32 v23, vcc_lo, v36, v23, vcc_lo
	v_cvt_f32_f64_e32 v24, v[24:25]
	v_cvt_f32_f64_e32 v25, v[26:27]
	v_cvt_f64_f32_e32 v[26:27], v32
	v_cvt_f64_f32_e32 v[6:7], v30
	v_add_co_u32 v30, vcc_lo, v22, s2
	v_add_co_ci_u32_e32 v31, vcc_lo, s6, v23, vcc_lo
	v_mul_f32_e32 v34, v80, v11
	v_mul_f32_e32 v35, v80, v10
	s_waitcnt lgkmcnt(0)
	v_mul_f32_e32 v36, v76, v19
	v_mul_f32_e32 v37, v76, v18
	v_add_co_u32 v32, vcc_lo, v30, s2
	v_fmac_f32_e32 v34, v79, v10
	v_cvt_f32_f64_e32 v0, v[0:1]
	v_cvt_f32_f64_e32 v1, v[2:3]
	;; [unrolled: 1-line block ×4, first 2 shown]
	v_cvt_f64_f32_e32 v[20:21], v34
	v_mul_f32_e32 v34, v70, v17
	v_mul_f64 v[4:5], v[8:9], s[0:1]
	v_fmac_f32_e32 v36, v75, v18
	global_store_dwordx2 v[22:23], v[24:25], off
	ds_read_b64 v[22:23], v103 offset:10560
	v_fma_f32 v24, v79, v11, -v35
	v_mul_f64 v[8:9], v[26:27], s[0:1]
	v_mul_f32_e32 v26, v74, v13
	v_mul_f32_e32 v27, v74, v12
	v_mul_f64 v[10:11], v[28:29], s[0:1]
	v_mul_f32_e32 v28, v72, v15
	v_mul_f32_e32 v29, v72, v14
	v_fmac_f32_e32 v34, v69, v16
	v_mul_f32_e32 v16, v70, v16
	v_cvt_f64_f32_e32 v[24:25], v24
	v_fmac_f32_e32 v26, v73, v12
	v_fma_f32 v27, v73, v13, -v27
	v_fmac_f32_e32 v28, v71, v14
	v_fma_f32 v29, v71, v15, -v29
	v_fma_f32 v16, v69, v17, -v16
	;; [unrolled: 1-line block ×3, first 2 shown]
	v_cvt_f64_f32_e32 v[12:13], v26
	v_cvt_f64_f32_e32 v[14:15], v27
	;; [unrolled: 1-line block ×3, first 2 shown]
	s_waitcnt lgkmcnt(0)
	v_mul_f32_e32 v38, v78, v23
	v_mul_f32_e32 v39, v78, v22
	v_cvt_f64_f32_e32 v[28:29], v29
	v_cvt_f64_f32_e32 v[34:35], v34
	;; [unrolled: 1-line block ×3, first 2 shown]
	v_fmac_f32_e32 v38, v77, v22
	v_fma_f32 v39, v77, v23, -v39
	v_cvt_f64_f32_e32 v[18:19], v36
	v_cvt_f64_f32_e32 v[22:23], v37
	v_mul_f64 v[6:7], v[6:7], s[0:1]
	v_cvt_f64_f32_e32 v[36:37], v38
	v_cvt_f64_f32_e32 v[38:39], v39
	v_add_co_ci_u32_e32 v33, vcc_lo, s6, v31, vcc_lo
	global_store_dwordx2 v[30:31], v[0:1], off
	global_store_dwordx2 v[32:33], v[2:3], off
	v_cvt_f32_f64_e32 v1, v[4:5]
	v_mul_f64 v[2:3], v[20:21], s[0:1]
	v_mul_f64 v[4:5], v[24:25], s[0:1]
	;; [unrolled: 1-line block ×4, first 2 shown]
	v_cvt_f32_f64_e32 v8, v[8:9]
	v_cvt_f32_f64_e32 v9, v[10:11]
	v_mul_f64 v[10:11], v[26:27], s[0:1]
	v_mul_f64 v[20:21], v[28:29], s[0:1]
	;; [unrolled: 1-line block ×6, first 2 shown]
	v_cvt_f32_f64_e32 v0, v[6:7]
	v_mul_f64 v[26:27], v[36:37], s[0:1]
	v_mul_f64 v[28:29], v[38:39], s[0:1]
	v_add_co_u32 v6, vcc_lo, v32, s2
	v_add_co_ci_u32_e32 v7, vcc_lo, s6, v33, vcc_lo
	v_add_co_u32 v30, vcc_lo, v6, s2
	v_add_co_ci_u32_e32 v31, vcc_lo, s6, v7, vcc_lo
	v_cvt_f32_f64_e32 v2, v[2:3]
	v_cvt_f32_f64_e32 v3, v[4:5]
	v_add_co_u32 v4, vcc_lo, v30, s2
	v_add_co_ci_u32_e32 v5, vcc_lo, s6, v31, vcc_lo
	v_cvt_f32_f64_e32 v12, v[12:13]
	v_cvt_f32_f64_e32 v13, v[14:15]
	;; [unrolled: 4-line block ×3, first 2 shown]
	v_cvt_f32_f64_e32 v20, v[24:25]
	v_cvt_f32_f64_e32 v21, v[16:17]
	;; [unrolled: 1-line block ×6, first 2 shown]
	v_add_co_u32 v22, vcc_lo, v14, s2
	v_add_co_ci_u32_e32 v23, vcc_lo, s6, v15, vcc_lo
	global_store_dwordx2 v[6:7], v[0:1], off
	v_add_co_u32 v0, vcc_lo, v22, s2
	v_add_co_ci_u32_e32 v1, vcc_lo, s6, v23, vcc_lo
	global_store_dwordx2 v[30:31], v[8:9], off
	v_add_co_u32 v6, vcc_lo, v0, s2
	v_add_co_ci_u32_e32 v7, vcc_lo, s6, v1, vcc_lo
	global_store_dwordx2 v[4:5], v[2:3], off
	v_add_co_u32 v2, vcc_lo, v6, s2
	v_add_co_ci_u32_e32 v3, vcc_lo, s6, v7, vcc_lo
	global_store_dwordx2 v[14:15], v[12:13], off
	global_store_dwordx2 v[22:23], v[10:11], off
	global_store_dwordx2 v[0:1], v[20:21], off
	;; [unrolled: 1-line block ×4, first 2 shown]
.LBB0_18:
	s_endpgm
	.section	.rodata,"a",@progbits
	.p2align	6, 0x0
	.amdhsa_kernel bluestein_single_fwd_len1452_dim1_sp_op_CI_CI
		.amdhsa_group_segment_fixed_size 11616
		.amdhsa_private_segment_fixed_size 0
		.amdhsa_kernarg_size 104
		.amdhsa_user_sgpr_count 6
		.amdhsa_user_sgpr_private_segment_buffer 1
		.amdhsa_user_sgpr_dispatch_ptr 0
		.amdhsa_user_sgpr_queue_ptr 0
		.amdhsa_user_sgpr_kernarg_segment_ptr 1
		.amdhsa_user_sgpr_dispatch_id 0
		.amdhsa_user_sgpr_flat_scratch_init 0
		.amdhsa_user_sgpr_private_segment_size 0
		.amdhsa_wavefront_size32 1
		.amdhsa_uses_dynamic_stack 0
		.amdhsa_system_sgpr_private_segment_wavefront_offset 0
		.amdhsa_system_sgpr_workgroup_id_x 1
		.amdhsa_system_sgpr_workgroup_id_y 0
		.amdhsa_system_sgpr_workgroup_id_z 0
		.amdhsa_system_sgpr_workgroup_info 0
		.amdhsa_system_vgpr_workitem_id 0
		.amdhsa_next_free_vgpr 211
		.amdhsa_next_free_sgpr 20
		.amdhsa_reserve_vcc 1
		.amdhsa_reserve_flat_scratch 0
		.amdhsa_float_round_mode_32 0
		.amdhsa_float_round_mode_16_64 0
		.amdhsa_float_denorm_mode_32 3
		.amdhsa_float_denorm_mode_16_64 3
		.amdhsa_dx10_clamp 1
		.amdhsa_ieee_mode 1
		.amdhsa_fp16_overflow 0
		.amdhsa_workgroup_processor_mode 1
		.amdhsa_memory_ordered 1
		.amdhsa_forward_progress 0
		.amdhsa_shared_vgpr_count 0
		.amdhsa_exception_fp_ieee_invalid_op 0
		.amdhsa_exception_fp_denorm_src 0
		.amdhsa_exception_fp_ieee_div_zero 0
		.amdhsa_exception_fp_ieee_overflow 0
		.amdhsa_exception_fp_ieee_underflow 0
		.amdhsa_exception_fp_ieee_inexact 0
		.amdhsa_exception_int_div_zero 0
	.end_amdhsa_kernel
	.text
.Lfunc_end0:
	.size	bluestein_single_fwd_len1452_dim1_sp_op_CI_CI, .Lfunc_end0-bluestein_single_fwd_len1452_dim1_sp_op_CI_CI
                                        ; -- End function
	.section	.AMDGPU.csdata,"",@progbits
; Kernel info:
; codeLenInByte = 14800
; NumSgprs: 22
; NumVgprs: 211
; ScratchSize: 0
; MemoryBound: 0
; FloatMode: 240
; IeeeMode: 1
; LDSByteSize: 11616 bytes/workgroup (compile time only)
; SGPRBlocks: 2
; VGPRBlocks: 26
; NumSGPRsForWavesPerEU: 22
; NumVGPRsForWavesPerEU: 211
; Occupancy: 4
; WaveLimiterHint : 1
; COMPUTE_PGM_RSRC2:SCRATCH_EN: 0
; COMPUTE_PGM_RSRC2:USER_SGPR: 6
; COMPUTE_PGM_RSRC2:TRAP_HANDLER: 0
; COMPUTE_PGM_RSRC2:TGID_X_EN: 1
; COMPUTE_PGM_RSRC2:TGID_Y_EN: 0
; COMPUTE_PGM_RSRC2:TGID_Z_EN: 0
; COMPUTE_PGM_RSRC2:TIDIG_COMP_CNT: 0
	.text
	.p2alignl 6, 3214868480
	.fill 48, 4, 3214868480
	.type	__hip_cuid_206104f8f3d77678,@object ; @__hip_cuid_206104f8f3d77678
	.section	.bss,"aw",@nobits
	.globl	__hip_cuid_206104f8f3d77678
__hip_cuid_206104f8f3d77678:
	.byte	0                               ; 0x0
	.size	__hip_cuid_206104f8f3d77678, 1

	.ident	"AMD clang version 19.0.0git (https://github.com/RadeonOpenCompute/llvm-project roc-6.4.0 25133 c7fe45cf4b819c5991fe208aaa96edf142730f1d)"
	.section	".note.GNU-stack","",@progbits
	.addrsig
	.addrsig_sym __hip_cuid_206104f8f3d77678
	.amdgpu_metadata
---
amdhsa.kernels:
  - .args:
      - .actual_access:  read_only
        .address_space:  global
        .offset:         0
        .size:           8
        .value_kind:     global_buffer
      - .actual_access:  read_only
        .address_space:  global
        .offset:         8
        .size:           8
        .value_kind:     global_buffer
      - .actual_access:  read_only
        .address_space:  global
        .offset:         16
        .size:           8
        .value_kind:     global_buffer
      - .actual_access:  read_only
        .address_space:  global
        .offset:         24
        .size:           8
        .value_kind:     global_buffer
      - .actual_access:  read_only
        .address_space:  global
        .offset:         32
        .size:           8
        .value_kind:     global_buffer
      - .offset:         40
        .size:           8
        .value_kind:     by_value
      - .address_space:  global
        .offset:         48
        .size:           8
        .value_kind:     global_buffer
      - .address_space:  global
        .offset:         56
        .size:           8
        .value_kind:     global_buffer
      - .address_space:  global
        .offset:         64
        .size:           8
        .value_kind:     global_buffer
      - .address_space:  global
        .offset:         72
        .size:           8
        .value_kind:     global_buffer
      - .offset:         80
        .size:           4
        .value_kind:     by_value
      - .address_space:  global
        .offset:         88
        .size:           8
        .value_kind:     global_buffer
      - .address_space:  global
        .offset:         96
        .size:           8
        .value_kind:     global_buffer
    .group_segment_fixed_size: 11616
    .kernarg_segment_align: 8
    .kernarg_segment_size: 104
    .language:       OpenCL C
    .language_version:
      - 2
      - 0
    .max_flat_workgroup_size: 132
    .name:           bluestein_single_fwd_len1452_dim1_sp_op_CI_CI
    .private_segment_fixed_size: 0
    .sgpr_count:     22
    .sgpr_spill_count: 0
    .symbol:         bluestein_single_fwd_len1452_dim1_sp_op_CI_CI.kd
    .uniform_work_group_size: 1
    .uses_dynamic_stack: false
    .vgpr_count:     211
    .vgpr_spill_count: 0
    .wavefront_size: 32
    .workgroup_processor_mode: 1
amdhsa.target:   amdgcn-amd-amdhsa--gfx1030
amdhsa.version:
  - 1
  - 2
...

	.end_amdgpu_metadata
